;; amdgpu-corpus repo=pytorch/pytorch kind=compiled arch=gfx1250 opt=O3
	.amdgcn_target "amdgcn-amd-amdhsa--gfx1250"
	.amdhsa_code_object_version 6
	.section	.text._ZN2at6native12_GLOBAL__N_125multi_tensor_apply_kernelINS1_18TensorListMetadataILi3EEENS1_19FusedSgdMathFunctorIdLi3EEEJddPfddbbbS7_S7_EEEvT_T0_DpT1_,"axG",@progbits,_ZN2at6native12_GLOBAL__N_125multi_tensor_apply_kernelINS1_18TensorListMetadataILi3EEENS1_19FusedSgdMathFunctorIdLi3EEEJddPfddbbbS7_S7_EEEvT_T0_DpT1_,comdat
	.globl	_ZN2at6native12_GLOBAL__N_125multi_tensor_apply_kernelINS1_18TensorListMetadataILi3EEENS1_19FusedSgdMathFunctorIdLi3EEEJddPfddbbbS7_S7_EEEvT_T0_DpT1_ ; -- Begin function _ZN2at6native12_GLOBAL__N_125multi_tensor_apply_kernelINS1_18TensorListMetadataILi3EEENS1_19FusedSgdMathFunctorIdLi3EEEJddPfddbbbS7_S7_EEEvT_T0_DpT1_
	.p2align	8
	.type	_ZN2at6native12_GLOBAL__N_125multi_tensor_apply_kernelINS1_18TensorListMetadataILi3EEENS1_19FusedSgdMathFunctorIdLi3EEEJddPfddbbbS7_S7_EEEvT_T0_DpT1_,@function
_ZN2at6native12_GLOBAL__N_125multi_tensor_apply_kernelINS1_18TensorListMetadataILi3EEENS1_19FusedSgdMathFunctorIdLi3EEEJddPfddbbbS7_S7_EEEvT_T0_DpT1_: ; @_ZN2at6native12_GLOBAL__N_125multi_tensor_apply_kernelINS1_18TensorListMetadataILi3EEENS1_19FusedSgdMathFunctorIdLi3EEEJddPfddbbbS7_S7_EEEvT_T0_DpT1_
; %bb.0:
	s_load_b128 s[20:23], s[0:1], 0xc80
	s_wait_kmcnt 0x0
	s_cmp_eq_u64 s[22:23], 0
	s_cselect_b32 s2, -1, 0
	s_delay_alu instid0(SALU_CYCLE_1)
	s_and_b32 vcc_lo, exec_lo, s2
	s_cbranch_vccnz .LBB0_2
; %bb.1:
	s_load_b32 s2, s[22:23], 0x0
	s_wait_kmcnt 0x0
	s_cmp_neq_f32 s2, 1.0
	s_cselect_b32 s2, -1, 0
.LBB0_2:
	s_delay_alu instid0(SALU_CYCLE_1)
	s_and_not1_b32 vcc_lo, exec_lo, s2
	s_cbranch_vccnz .LBB0_74
; %bb.3:
	s_bfe_u32 s2, ttmp6, 0x4000c
	s_and_b32 s3, ttmp6, 15
	s_add_co_i32 s2, s2, 1
	s_getreg_b32 s4, hwreg(HW_REG_IB_STS2, 6, 4)
	s_mul_i32 s2, ttmp9, s2
	s_load_b256 s[12:19], s[0:1], 0xc50
	s_add_co_i32 s3, s3, s2
	s_cmp_eq_u32 s4, 0
	s_mov_b32 s23, 0
	s_cselect_b32 s22, ttmp9, s3
	s_delay_alu instid0(SALU_CYCLE_1) | instskip(SKIP_2) | instid1(SALU_CYCLE_1)
	v_mov_b32_e32 v1, s22
	s_add_nc_u64 s[2:3], s[0:1], s[22:23]
	s_mul_u64 s[4:5], s[22:23], 3
	s_add_nc_u64 s[2:3], s[2:3], s[4:5]
	global_load_u8 v1, v1, s[0:1] offset:1536
	s_clause 0x1
	s_load_b64 s[24:25], s[0:1], 0xc70
	s_load_b32 s30, s[2:3], 0x740
	s_wait_kmcnt 0x0
	v_mov_b64_e32 v[24:25], s[18:19]
	s_cmp_eq_u64 s[16:17], 0
	s_wait_loadcnt 0x0
	v_readfirstlane_b32 s5, v1
	s_cbranch_scc1 .LBB0_5
; %bb.4:
	s_load_b32 s2, s[16:17], 0x0
	s_wait_kmcnt 0x0
	v_cvt_f64_f32_e32 v[24:25], s2
.LBB0_5:
	s_load_b32 s4, s[0:1], 0xc78
	s_mov_b32 s37, s23
	s_wait_kmcnt 0x0
	s_bitcmp1_b32 s4, 0
	s_cselect_b32 s2, -1, 0
	s_bitcmp1_b32 s4, 8
	s_cselect_b32 s3, -1, 0
	;; [unrolled: 2-line block ×3, first 2 shown]
	s_and_b32 s5, s5, 0xff
	s_clause 0x3
	s_load_b64 s[6:7], s[0:1], s5 offset:0x0 scale_offset
	s_load_b64 s[8:9], s[0:1], s5 offset:0x300 scale_offset
	;; [unrolled: 1-line block ×4, first 2 shown]
	s_ashr_i32 s31, s30, 31
	s_wait_xcnt 0x0
	s_mov_b32 s5, -1
	s_lshl_b64 s[26:27], s[30:31], 19
	s_lshl_b64 s[30:31], s[30:31], 16
	s_wait_kmcnt 0x0
	s_add_nc_u64 s[10:11], s[6:7], s[26:27]
	s_add_nc_u64 s[16:17], s[8:9], s[26:27]
	;; [unrolled: 1-line block ×3, first 2 shown]
	s_and_b32 s36, s16, 31
	s_and_b64 s[38:39], s[34:35], 3
	s_and_b32 s22, s18, 31
	s_or_b64 s[36:37], s[38:39], s[36:37]
	s_and_b64 s[38:39], s[10:11], 31
	s_or_b64 s[22:23], s[36:37], s[22:23]
	s_delay_alu instid0(SALU_CYCLE_1)
	s_or_b64 s[36:37], s[22:23], s[38:39]
	s_sub_nc_u64 s[22:23], s[34:35], s[30:31]
	s_cmp_eq_u64 s[36:37], 0
	s_cbranch_scc1 .LBB0_60
; %bb.6:
	v_cmp_lt_i64_e64 s5, s[22:23], 1
	s_and_b32 vcc_lo, exec_lo, s5
	s_cbranch_vccnz .LBB0_59
; %bb.7:
	s_load_b32 s30, s[0:1], 0xc9c
	v_min_i64 v[2:3], 0x10000, s[22:23]
	v_cmp_neq_f64_e64 s5, s[12:13], 0
	v_add_f64_e64 v[4:5], -s[24:25], 1.0
	v_dual_mov_b32 v1, 0 :: v_dual_lshlrev_b32 v14, 3, v0
	s_mov_b32 s35, 0
	s_delay_alu instid0(SALU_CYCLE_1) | instskip(NEXT) | instid1(VALU_DEP_1)
	s_mov_b32 s39, s35
	v_dual_mov_b32 v15, v1 :: v_dual_mov_b32 v37, v1
	s_mov_b32 s31, s35
	s_mov_b32 s37, s35
	s_delay_alu instid0(VALU_DEP_1) | instskip(SKIP_4) | instid1(SALU_CYCLE_1)
	v_add_nc_u64_e32 v[6:7], s[6:7], v[14:15]
	v_add_nc_u64_e32 v[8:9], s[28:29], v[14:15]
	;; [unrolled: 1-line block ×3, first 2 shown]
	s_wait_kmcnt 0x0
	s_and_b32 s34, s30, 0xffff
	s_lshl_b32 s30, s34, 1
	v_add_nc_u64_e32 v[12:13], s[34:35], v[0:1]
	v_mad_nc_u64_u32 v[22:23], s34, 24, v[14:15]
	s_cmp_lg_u64 s[20:21], 0
	s_mul_i32 s36, s34, 3
	s_cselect_b32 s33, -1, 0
	s_lshl_b32 s38, s34, 4
	v_add_nc_u64_e32 v[16:17], s[30:31], v[0:1]
	v_add_nc_u64_e32 v[30:31], s[38:39], v[14:15]
	v_lshlrev_b32_e32 v36, 3, v12
	v_add_nc_u64_e32 v[14:15], s[36:37], v[0:1]
	s_lshl_b32 s30, s34, 2
	s_lshl_b32 s34, s34, 5
	v_add_nc_u64_e32 v[18:19], s[6:7], v[22:23]
	v_add_nc_u64_e32 v[20:21], s[28:29], v[22:23]
	;; [unrolled: 1-line block ×9, first 2 shown]
	s_mov_b64 s[28:29], 0
	s_branch .LBB0_9
.LBB0_8:                                ;   in Loop: Header=BB0_9 Depth=1
	s_wait_xcnt 0x0
	s_or_b32 exec_lo, exec_lo, s6
	s_add_nc_u64 s[28:29], s[28:29], s[30:31]
	v_add_nc_u64_e32 v[6:7], s[34:35], v[6:7]
	v_cmp_lt_i64_e32 vcc_lo, s[28:29], v[2:3]
	v_add_nc_u64_e32 v[8:9], s[34:35], v[8:9]
	v_add_nc_u64_e32 v[10:11], s[34:35], v[10:11]
	;; [unrolled: 1-line block ×11, first 2 shown]
	s_cbranch_vccz .LBB0_59
.LBB0_9:                                ; =>This Inner Loop Header: Depth=1
	v_add_nc_u64_e32 v[40:41], s[28:29], v[0:1]
	v_mov_b64_e32 v[54:55], 0
	v_mov_b64_e32 v[38:39], 0
	v_mov_b64_e32 v[46:47], 0
	s_delay_alu instid0(VALU_DEP_4)
	v_cmp_lt_i64_e64 s6, v[40:41], v[2:3]
	s_and_saveexec_b32 s7, s6
	s_cbranch_execz .LBB0_11
; %bb.10:                               ;   in Loop: Header=BB0_9 Depth=1
	v_add_nc_u64_e32 v[40:41], s[26:27], v[6:7]
	v_add_nc_u64_e32 v[42:43], s[26:27], v[8:9]
	global_load_b64 v[46:47], v[40:41], off
	global_load_b64 v[38:39], v[42:43], off
.LBB0_11:                               ;   in Loop: Header=BB0_9 Depth=1
	s_wait_xcnt 0x0
	s_or_b32 exec_lo, exec_lo, s7
	s_and_saveexec_b32 s7, s6
	s_cbranch_execz .LBB0_13
; %bb.12:                               ;   in Loop: Header=BB0_9 Depth=1
	v_add_nc_u64_e32 v[40:41], s[26:27], v[10:11]
	global_load_b64 v[54:55], v[40:41], off
.LBB0_13:                               ;   in Loop: Header=BB0_9 Depth=1
	s_wait_xcnt 0x0
	s_or_b32 exec_lo, exec_lo, s7
	v_add_nc_u64_e32 v[42:43], s[28:29], v[12:13]
	v_mov_b64_e32 v[56:57], 0
	v_mov_b64_e32 v[40:41], 0
	v_mov_b64_e32 v[48:49], 0
	s_delay_alu instid0(VALU_DEP_4)
	v_cmp_lt_i64_e64 s7, v[42:43], v[2:3]
	s_and_saveexec_b32 s8, s7
	s_cbranch_execz .LBB0_15
; %bb.14:                               ;   in Loop: Header=BB0_9 Depth=1
	v_add_nc_u64_e32 v[42:43], s[26:27], v[32:33]
	v_add_nc_u64_e32 v[44:45], s[26:27], v[34:35]
	global_load_b64 v[48:49], v[42:43], off
	global_load_b64 v[40:41], v[44:45], off
.LBB0_15:                               ;   in Loop: Header=BB0_9 Depth=1
	s_wait_xcnt 0x0
	s_or_b32 exec_lo, exec_lo, s8
	s_and_saveexec_b32 s8, s7
	s_cbranch_execz .LBB0_17
; %bb.16:                               ;   in Loop: Header=BB0_9 Depth=1
	v_add_nc_u64_e32 v[42:43], s[26:27], v[36:37]
	global_load_b64 v[56:57], v[42:43], off
.LBB0_17:                               ;   in Loop: Header=BB0_9 Depth=1
	s_wait_xcnt 0x0
	s_or_b32 exec_lo, exec_lo, s8
	;; [unrolled: 24-line block ×3, first 2 shown]
	v_add_nc_u64_e32 v[52:53], s[28:29], v[14:15]
	v_mov_b64_e32 v[60:61], 0
	v_mov_b64_e32 v[44:45], 0
	s_delay_alu instid0(VALU_DEP_3)
	v_cmp_lt_i64_e64 s9, v[52:53], v[2:3]
	v_mov_b64_e32 v[52:53], 0
	s_and_saveexec_b32 s36, s9
	s_cbranch_execnz .LBB0_50
; %bb.22:                               ;   in Loop: Header=BB0_9 Depth=1
	s_or_b32 exec_lo, exec_lo, s36
	s_and_saveexec_b32 s36, s9
	s_cbranch_execnz .LBB0_51
.LBB0_23:                               ;   in Loop: Header=BB0_9 Depth=1
	s_or_b32 exec_lo, exec_lo, s36
	s_delay_alu instid0(SALU_CYCLE_1)
	s_and_not1_b32 vcc_lo, exec_lo, s33
	s_cbranch_vccnz .LBB0_25
.LBB0_24:                               ;   in Loop: Header=BB0_9 Depth=1
	s_load_b32 s36, s[20:21], 0x0
	s_wait_kmcnt 0x0
	v_cvt_f64_f32_e32 v[62:63], s36
	s_wait_loadcnt 0x0
	s_delay_alu instid0(VALU_DEP_1) | instskip(NEXT) | instid1(VALU_DEP_1)
	v_div_scale_f64 v[64:65], null, v[62:63], v[62:63], v[38:39]
	v_rcp_f64_e32 v[66:67], v[64:65]
	v_nop
	s_delay_alu instid0(TRANS32_DEP_1) | instskip(NEXT) | instid1(VALU_DEP_1)
	v_fma_f64 v[68:69], -v[64:65], v[66:67], 1.0
	v_fmac_f64_e32 v[66:67], v[66:67], v[68:69]
	s_delay_alu instid0(VALU_DEP_1) | instskip(NEXT) | instid1(VALU_DEP_1)
	v_fma_f64 v[68:69], -v[64:65], v[66:67], 1.0
	v_fmac_f64_e32 v[66:67], v[66:67], v[68:69]
	v_div_scale_f64 v[68:69], vcc_lo, v[38:39], v[62:63], v[38:39]
	s_delay_alu instid0(VALU_DEP_1) | instskip(NEXT) | instid1(VALU_DEP_1)
	v_mul_f64_e32 v[70:71], v[68:69], v[66:67]
	v_fma_f64 v[64:65], -v[64:65], v[70:71], v[68:69]
	s_delay_alu instid0(VALU_DEP_1) | instskip(NEXT) | instid1(VALU_DEP_1)
	v_div_fmas_f64 v[64:65], v[64:65], v[66:67], v[70:71]
	v_div_fixup_f64 v[38:39], v[64:65], v[62:63], v[38:39]
.LBB0_25:                               ;   in Loop: Header=BB0_9 Depth=1
	s_and_not1_b32 vcc_lo, exec_lo, s33
	s_cbranch_vccnz .LBB0_27
; %bb.26:                               ;   in Loop: Header=BB0_9 Depth=1
	s_load_b32 s36, s[20:21], 0x0
	s_wait_kmcnt 0x0
	v_cvt_f64_f32_e32 v[62:63], s36
	s_wait_loadcnt 0x0
	s_delay_alu instid0(VALU_DEP_1) | instskip(NEXT) | instid1(VALU_DEP_1)
	v_div_scale_f64 v[64:65], null, v[62:63], v[62:63], v[40:41]
	v_rcp_f64_e32 v[66:67], v[64:65]
	v_nop
	s_delay_alu instid0(TRANS32_DEP_1) | instskip(NEXT) | instid1(VALU_DEP_1)
	v_fma_f64 v[68:69], -v[64:65], v[66:67], 1.0
	v_fmac_f64_e32 v[66:67], v[66:67], v[68:69]
	s_delay_alu instid0(VALU_DEP_1) | instskip(NEXT) | instid1(VALU_DEP_1)
	v_fma_f64 v[68:69], -v[64:65], v[66:67], 1.0
	v_fmac_f64_e32 v[66:67], v[66:67], v[68:69]
	v_div_scale_f64 v[68:69], vcc_lo, v[40:41], v[62:63], v[40:41]
	s_delay_alu instid0(VALU_DEP_1) | instskip(NEXT) | instid1(VALU_DEP_1)
	v_mul_f64_e32 v[70:71], v[68:69], v[66:67]
	v_fma_f64 v[64:65], -v[64:65], v[70:71], v[68:69]
	s_delay_alu instid0(VALU_DEP_1) | instskip(NEXT) | instid1(VALU_DEP_1)
	v_div_fmas_f64 v[64:65], v[64:65], v[66:67], v[70:71]
	v_div_fixup_f64 v[40:41], v[64:65], v[62:63], v[40:41]
.LBB0_27:                               ;   in Loop: Header=BB0_9 Depth=1
	s_and_not1_b32 vcc_lo, exec_lo, s33
	s_cbranch_vccnz .LBB0_29
; %bb.28:                               ;   in Loop: Header=BB0_9 Depth=1
	s_load_b32 s36, s[20:21], 0x0
	s_wait_kmcnt 0x0
	v_cvt_f64_f32_e32 v[62:63], s36
	s_wait_loadcnt 0x0
	s_delay_alu instid0(VALU_DEP_1) | instskip(NEXT) | instid1(VALU_DEP_1)
	v_div_scale_f64 v[64:65], null, v[62:63], v[62:63], v[42:43]
	v_rcp_f64_e32 v[66:67], v[64:65]
	v_nop
	s_delay_alu instid0(TRANS32_DEP_1) | instskip(NEXT) | instid1(VALU_DEP_1)
	v_fma_f64 v[68:69], -v[64:65], v[66:67], 1.0
	v_fmac_f64_e32 v[66:67], v[66:67], v[68:69]
	s_delay_alu instid0(VALU_DEP_1) | instskip(NEXT) | instid1(VALU_DEP_1)
	v_fma_f64 v[68:69], -v[64:65], v[66:67], 1.0
	v_fmac_f64_e32 v[66:67], v[66:67], v[68:69]
	v_div_scale_f64 v[68:69], vcc_lo, v[42:43], v[62:63], v[42:43]
	s_delay_alu instid0(VALU_DEP_1) | instskip(NEXT) | instid1(VALU_DEP_1)
	v_mul_f64_e32 v[70:71], v[68:69], v[66:67]
	v_fma_f64 v[64:65], -v[64:65], v[70:71], v[68:69]
	s_delay_alu instid0(VALU_DEP_1) | instskip(NEXT) | instid1(VALU_DEP_1)
	v_div_fmas_f64 v[64:65], v[64:65], v[66:67], v[70:71]
	v_div_fixup_f64 v[42:43], v[64:65], v[62:63], v[42:43]
.LBB0_29:                               ;   in Loop: Header=BB0_9 Depth=1
	;; [unrolled: 25-line block ×3, first 2 shown]
	s_wait_loadcnt 0x0
	s_delay_alu instid0(VALU_DEP_1) | instskip(NEXT) | instid1(VALU_DEP_1)
	v_xor_b32_e32 v63, 0x80000000, v39
	v_dual_mov_b32 v62, v38 :: v_dual_cndmask_b32 v63, v39, v63, s3
	s_delay_alu instid0(VALU_DEP_1) | instskip(NEXT) | instid1(VALU_DEP_1)
	v_mov_b64_e32 v[64:65], v[62:63]
	v_fmac_f64_e32 v[64:65], s[12:13], v[46:47]
	s_delay_alu instid0(VALU_DEP_1) | instskip(NEXT) | instid1(VALU_DEP_1)
	v_dual_cndmask_b32 v63, v63, v65, s5 :: v_dual_cndmask_b32 v62, v38, v64, s5
	v_mul_f64_e32 v[64:65], v[4:5], v[62:63]
	s_delay_alu instid0(VALU_DEP_1) | instskip(NEXT) | instid1(VALU_DEP_1)
	v_fmac_f64_e32 v[64:65], s[14:15], v[54:55]
	v_dual_cndmask_b32 v55, v65, v63, s4 :: v_dual_cndmask_b32 v54, v64, v62, s4
	s_and_saveexec_b32 s36, s6
	s_cbranch_execz .LBB0_33
; %bb.32:                               ;   in Loop: Header=BB0_9 Depth=1
	s_delay_alu instid0(VALU_DEP_1) | instskip(NEXT) | instid1(VALU_DEP_1)
	v_fmac_f64_e32 v[62:63], s[14:15], v[54:55]
	v_dual_cndmask_b32 v63, v55, v63, s2 :: v_dual_cndmask_b32 v62, v54, v62, s2
	s_delay_alu instid0(VALU_DEP_1)
	v_fma_f64 v[46:47], -v[24:25], v[62:63], v[46:47]
	v_add_nc_u64_e32 v[62:63], s[26:27], v[6:7]
	global_store_b64 v[62:63], v[46:47], off
.LBB0_33:                               ;   in Loop: Header=BB0_9 Depth=1
	s_wait_xcnt 0x0
	s_or_b32 exec_lo, exec_lo, s36
	v_xor_b32_e32 v47, 0x80000000, v41
	s_delay_alu instid0(VALU_DEP_1) | instskip(NEXT) | instid1(VALU_DEP_1)
	v_dual_mov_b32 v46, v40 :: v_dual_cndmask_b32 v47, v41, v47, s3
	v_mov_b64_e32 v[62:63], v[46:47]
	s_delay_alu instid0(VALU_DEP_1) | instskip(NEXT) | instid1(VALU_DEP_1)
	v_fmac_f64_e32 v[62:63], s[12:13], v[48:49]
	v_dual_cndmask_b32 v63, v47, v63, s5 :: v_dual_cndmask_b32 v62, v40, v62, s5
	s_delay_alu instid0(VALU_DEP_1) | instskip(NEXT) | instid1(VALU_DEP_1)
	v_mul_f64_e32 v[46:47], v[4:5], v[62:63]
	v_fmac_f64_e32 v[46:47], s[14:15], v[56:57]
	s_delay_alu instid0(VALU_DEP_1)
	v_dual_cndmask_b32 v47, v47, v63, s4 :: v_dual_cndmask_b32 v46, v46, v62, s4
	s_and_saveexec_b32 s36, s7
	s_cbranch_execz .LBB0_35
; %bb.34:                               ;   in Loop: Header=BB0_9 Depth=1
	s_delay_alu instid0(VALU_DEP_1) | instskip(NEXT) | instid1(VALU_DEP_1)
	v_fmac_f64_e32 v[62:63], s[14:15], v[46:47]
	v_dual_cndmask_b32 v57, v47, v63, s2 :: v_dual_cndmask_b32 v56, v46, v62, s2
	s_delay_alu instid0(VALU_DEP_1)
	v_fma_f64 v[48:49], -v[24:25], v[56:57], v[48:49]
	v_add_nc_u64_e32 v[56:57], s[26:27], v[32:33]
	global_store_b64 v[56:57], v[48:49], off
.LBB0_35:                               ;   in Loop: Header=BB0_9 Depth=1
	s_wait_xcnt 0x0
	s_or_b32 exec_lo, exec_lo, s36
	v_xor_b32_e32 v49, 0x80000000, v43
	s_delay_alu instid0(VALU_DEP_1) | instskip(NEXT) | instid1(VALU_DEP_1)
	v_dual_mov_b32 v48, v42 :: v_dual_cndmask_b32 v49, v43, v49, s3
	v_mov_b64_e32 v[56:57], v[48:49]
	s_delay_alu instid0(VALU_DEP_1) | instskip(NEXT) | instid1(VALU_DEP_1)
	v_fmac_f64_e32 v[56:57], s[12:13], v[50:51]
	v_dual_cndmask_b32 v57, v49, v57, s5 :: v_dual_cndmask_b32 v56, v42, v56, s5
	s_delay_alu instid0(VALU_DEP_1) | instskip(NEXT) | instid1(VALU_DEP_1)
	v_mul_f64_e32 v[48:49], v[4:5], v[56:57]
	v_fmac_f64_e32 v[48:49], s[14:15], v[58:59]
	s_delay_alu instid0(VALU_DEP_1)
	;; [unrolled: 25-line block ×3, first 2 shown]
	v_dual_cndmask_b32 v51, v51, v57, s4 :: v_dual_cndmask_b32 v50, v50, v56, s4
	s_and_saveexec_b32 s36, s9
	s_cbranch_execz .LBB0_39
; %bb.38:                               ;   in Loop: Header=BB0_9 Depth=1
	s_delay_alu instid0(VALU_DEP_1) | instskip(NEXT) | instid1(VALU_DEP_1)
	v_fmac_f64_e32 v[56:57], s[14:15], v[50:51]
	v_dual_cndmask_b32 v57, v51, v57, s2 :: v_dual_cndmask_b32 v56, v50, v56, s2
	s_delay_alu instid0(VALU_DEP_1)
	v_fma_f64 v[52:53], -v[24:25], v[56:57], v[52:53]
	v_add_nc_u64_e32 v[56:57], s[26:27], v[18:19]
	global_store_b64 v[56:57], v[52:53], off
.LBB0_39:                               ;   in Loop: Header=BB0_9 Depth=1
	s_wait_xcnt 0x0
	s_or_b32 exec_lo, exec_lo, s36
	s_delay_alu instid0(SALU_CYCLE_1)
	s_and_not1_b32 vcc_lo, exec_lo, s33
	s_cbranch_vccnz .LBB0_46
; %bb.40:                               ;   in Loop: Header=BB0_9 Depth=1
	s_and_saveexec_b32 s36, s6
	s_cbranch_execnz .LBB0_56
; %bb.41:                               ;   in Loop: Header=BB0_9 Depth=1
	s_or_b32 exec_lo, exec_lo, s36
	s_and_saveexec_b32 s36, s7
	s_cbranch_execnz .LBB0_57
.LBB0_42:                               ;   in Loop: Header=BB0_9 Depth=1
	s_or_b32 exec_lo, exec_lo, s36
	s_and_saveexec_b32 s36, s8
	s_cbranch_execnz .LBB0_58
.LBB0_43:                               ;   in Loop: Header=BB0_9 Depth=1
	s_or_b32 exec_lo, exec_lo, s36
	s_and_saveexec_b32 s36, s9
	s_cbranch_execz .LBB0_45
.LBB0_44:                               ;   in Loop: Header=BB0_9 Depth=1
	v_add_nc_u64_e32 v[38:39], s[26:27], v[20:21]
	global_store_b64 v[38:39], v[44:45], off
.LBB0_45:                               ;   in Loop: Header=BB0_9 Depth=1
	s_wait_xcnt 0x0
	s_or_b32 exec_lo, exec_lo, s36
.LBB0_46:                               ;   in Loop: Header=BB0_9 Depth=1
	s_and_saveexec_b32 s36, s6
	s_cbranch_execnz .LBB0_52
; %bb.47:                               ;   in Loop: Header=BB0_9 Depth=1
	s_or_b32 exec_lo, exec_lo, s36
	s_and_saveexec_b32 s6, s7
	s_cbranch_execnz .LBB0_53
.LBB0_48:                               ;   in Loop: Header=BB0_9 Depth=1
	s_or_b32 exec_lo, exec_lo, s6
	s_and_saveexec_b32 s6, s8
	s_cbranch_execnz .LBB0_54
.LBB0_49:                               ;   in Loop: Header=BB0_9 Depth=1
	s_or_b32 exec_lo, exec_lo, s6
	s_and_saveexec_b32 s6, s9
	s_cbranch_execz .LBB0_8
	s_branch .LBB0_55
.LBB0_50:                               ;   in Loop: Header=BB0_9 Depth=1
	v_add_nc_u64_e32 v[62:63], s[26:27], v[18:19]
	v_add_nc_u64_e32 v[64:65], s[26:27], v[20:21]
	global_load_b64 v[52:53], v[62:63], off
	global_load_b64 v[44:45], v[64:65], off
	s_wait_xcnt 0x0
	s_or_b32 exec_lo, exec_lo, s36
	s_and_saveexec_b32 s36, s9
	s_cbranch_execz .LBB0_23
.LBB0_51:                               ;   in Loop: Header=BB0_9 Depth=1
	v_add_nc_u64_e32 v[60:61], s[26:27], v[22:23]
	global_load_b64 v[60:61], v[60:61], off
	s_wait_xcnt 0x0
	s_or_b32 exec_lo, exec_lo, s36
	s_delay_alu instid0(SALU_CYCLE_1)
	s_and_not1_b32 vcc_lo, exec_lo, s33
	s_cbranch_vccz .LBB0_24
	s_branch .LBB0_25
.LBB0_52:                               ;   in Loop: Header=BB0_9 Depth=1
	v_add_nc_u64_e32 v[38:39], s[26:27], v[10:11]
	global_store_b64 v[38:39], v[54:55], off
	s_wait_xcnt 0x0
	s_or_b32 exec_lo, exec_lo, s36
	s_and_saveexec_b32 s6, s7
	s_cbranch_execz .LBB0_48
.LBB0_53:                               ;   in Loop: Header=BB0_9 Depth=1
	v_add_nc_u64_e32 v[38:39], s[26:27], v[36:37]
	global_store_b64 v[38:39], v[46:47], off
	s_wait_xcnt 0x0
	s_or_b32 exec_lo, exec_lo, s6
	s_and_saveexec_b32 s6, s8
	s_cbranch_execz .LBB0_49
.LBB0_54:                               ;   in Loop: Header=BB0_9 Depth=1
	v_add_nc_u64_e32 v[38:39], s[26:27], v[30:31]
	global_store_b64 v[38:39], v[48:49], off
	s_wait_xcnt 0x0
	s_or_b32 exec_lo, exec_lo, s6
	s_and_saveexec_b32 s6, s9
	s_cbranch_execz .LBB0_8
.LBB0_55:                               ;   in Loop: Header=BB0_9 Depth=1
	v_add_nc_u64_e32 v[38:39], s[26:27], v[22:23]
	global_store_b64 v[38:39], v[50:51], off
	s_branch .LBB0_8
.LBB0_56:                               ;   in Loop: Header=BB0_9 Depth=1
	v_add_nc_u64_e32 v[52:53], s[26:27], v[8:9]
	global_store_b64 v[52:53], v[38:39], off
	s_wait_xcnt 0x0
	s_or_b32 exec_lo, exec_lo, s36
	s_and_saveexec_b32 s36, s7
	s_cbranch_execz .LBB0_42
.LBB0_57:                               ;   in Loop: Header=BB0_9 Depth=1
	v_add_nc_u64_e32 v[38:39], s[26:27], v[34:35]
	global_store_b64 v[38:39], v[40:41], off
	s_wait_xcnt 0x0
	s_or_b32 exec_lo, exec_lo, s36
	s_and_saveexec_b32 s36, s8
	s_cbranch_execz .LBB0_43
.LBB0_58:                               ;   in Loop: Header=BB0_9 Depth=1
	v_add_nc_u64_e32 v[38:39], s[26:27], v[28:29]
	global_store_b64 v[38:39], v[42:43], off
	s_wait_xcnt 0x0
	s_or_b32 exec_lo, exec_lo, s36
	s_and_saveexec_b32 s36, s9
	s_cbranch_execnz .LBB0_44
	s_branch .LBB0_45
.LBB0_59:
	s_mov_b32 s5, 0
.LBB0_60:
	s_delay_alu instid0(SALU_CYCLE_1)
	s_and_not1_b32 vcc_lo, exec_lo, s5
	s_cbranch_vccnz .LBB0_74
; %bb.61:
	v_dual_mov_b32 v27, 0 :: v_dual_lshlrev_b32 v26, 2, v0
	s_mov_b32 s5, exec_lo
	s_delay_alu instid0(VALU_DEP_1)
	v_cmpx_gt_i64_e64 s[22:23], v[26:27]
	s_cbranch_execz .LBB0_74
; %bb.62:
	s_load_b32 s0, s[0:1], 0xc9c
	v_cmp_neq_f64_e64 s5, s[12:13], 0
	v_add_f64_e64 v[28:29], -s[24:25], 1.0
	s_cmp_lg_u64 s[20:21], 0
	s_mov_b32 s7, 0
	s_wait_xcnt 0x0
	s_cselect_b32 s1, -1, 0
	s_mov_b32 s9, s7
	s_wait_kmcnt 0x0
	s_and_b32 s8, s0, 0xffff
	s_delay_alu instid0(SALU_CYCLE_1) | instskip(SKIP_2) | instid1(VALU_DEP_1)
	v_dual_mov_b32 v1, v27 :: v_dual_add_nc_u32 v38, s8, v0
	v_add_lshl_u32 v26, v0, s8, 2
	s_lshl_b32 s6, s8, 2
	v_mov_b64_e32 v[30:31], v[26:27]
	v_mov_b32_e32 v26, v0
	s_branch .LBB0_64
.LBB0_63:                               ;   in Loop: Header=BB0_64 Depth=1
	v_cmp_le_u64_e32 vcc_lo, s[22:23], v[30:31]
	v_add_nc_u32_e32 v26, s8, v26
	v_cmp_lt_u32_e64 s0, 0x3fff, v38
	v_add_nc_u64_e32 v[30:31], s[6:7], v[30:31]
	v_add_nc_u32_e32 v38, s8, v38
	s_clause 0x1
	global_store_b128 v[32:33], v[20:23], off
	global_store_b128 v[32:33], v[16:19], off offset:16
	s_wait_xcnt 0x2
	v_mov_b64_e32 v[0:1], v[26:27]
	s_or_b32 s0, vcc_lo, s0
	s_delay_alu instid0(SALU_CYCLE_1) | instskip(NEXT) | instid1(SALU_CYCLE_1)
	s_and_b32 s0, exec_lo, s0
	s_or_b32 s9, s0, s9
	s_wait_xcnt 0x0
	s_and_not1_b32 exec_lo, exec_lo, s9
	s_cbranch_execz .LBB0_74
.LBB0_64:                               ; =>This Inner Loop Header: Depth=1
	v_lshlrev_b64_e32 v[0:1], 5, v[0:1]
	s_and_not1_b32 vcc_lo, exec_lo, s1
	s_delay_alu instid0(VALU_DEP_1)
	v_add_nc_u64_e32 v[36:37], s[10:11], v[0:1]
	v_add_nc_u64_e32 v[34:35], s[18:19], v[0:1]
	;; [unrolled: 1-line block ×3, first 2 shown]
	s_clause 0x1
	global_load_b128 v[8:11], v[36:37], off offset:16
	global_load_b128 v[12:15], v[36:37], off
	s_clause 0x1
	global_load_b128 v[0:3], v[34:35], off offset:16
	global_load_b128 v[4:7], v[34:35], off
	;; [unrolled: 3-line block ×3, first 2 shown]
	s_cbranch_vccnz .LBB0_66
; %bb.65:                               ;   in Loop: Header=BB0_64 Depth=1
	global_load_b32 v39, v27, s[20:21]
	s_wait_loadcnt 0x0
	v_cvt_f64_f32_e32 v[40:41], v39
	s_delay_alu instid0(VALU_DEP_1) | instskip(NEXT) | instid1(VALU_DEP_1)
	v_div_scale_f64 v[42:43], null, v[40:41], v[40:41], v[4:5]
	v_rcp_f64_e32 v[44:45], v[42:43]
	v_nop
	s_delay_alu instid0(TRANS32_DEP_1) | instskip(NEXT) | instid1(VALU_DEP_1)
	v_fma_f64 v[46:47], -v[42:43], v[44:45], 1.0
	v_fmac_f64_e32 v[44:45], v[44:45], v[46:47]
	s_delay_alu instid0(VALU_DEP_1) | instskip(NEXT) | instid1(VALU_DEP_1)
	v_fma_f64 v[46:47], -v[42:43], v[44:45], 1.0
	v_fmac_f64_e32 v[44:45], v[44:45], v[46:47]
	v_div_scale_f64 v[46:47], vcc_lo, v[4:5], v[40:41], v[4:5]
	s_delay_alu instid0(VALU_DEP_1) | instskip(NEXT) | instid1(VALU_DEP_1)
	v_mul_f64_e32 v[48:49], v[46:47], v[44:45]
	v_fma_f64 v[42:43], -v[42:43], v[48:49], v[46:47]
	s_delay_alu instid0(VALU_DEP_1) | instskip(NEXT) | instid1(VALU_DEP_1)
	v_div_fmas_f64 v[42:43], v[42:43], v[44:45], v[48:49]
	v_div_fixup_f64 v[4:5], v[42:43], v[40:41], v[4:5]
.LBB0_66:                               ;   in Loop: Header=BB0_64 Depth=1
	s_and_not1_b32 vcc_lo, exec_lo, s1
	s_cbranch_vccnz .LBB0_68
; %bb.67:                               ;   in Loop: Header=BB0_64 Depth=1
	global_load_b32 v39, v27, s[20:21]
	s_wait_loadcnt 0x0
	v_cvt_f64_f32_e32 v[40:41], v39
	s_delay_alu instid0(VALU_DEP_1) | instskip(NEXT) | instid1(VALU_DEP_1)
	v_div_scale_f64 v[42:43], null, v[40:41], v[40:41], v[6:7]
	v_rcp_f64_e32 v[44:45], v[42:43]
	v_nop
	s_delay_alu instid0(TRANS32_DEP_1) | instskip(NEXT) | instid1(VALU_DEP_1)
	v_fma_f64 v[46:47], -v[42:43], v[44:45], 1.0
	v_fmac_f64_e32 v[44:45], v[44:45], v[46:47]
	s_delay_alu instid0(VALU_DEP_1) | instskip(NEXT) | instid1(VALU_DEP_1)
	v_fma_f64 v[46:47], -v[42:43], v[44:45], 1.0
	v_fmac_f64_e32 v[44:45], v[44:45], v[46:47]
	v_div_scale_f64 v[46:47], vcc_lo, v[6:7], v[40:41], v[6:7]
	s_delay_alu instid0(VALU_DEP_1) | instskip(NEXT) | instid1(VALU_DEP_1)
	v_mul_f64_e32 v[48:49], v[46:47], v[44:45]
	v_fma_f64 v[42:43], -v[42:43], v[48:49], v[46:47]
	s_delay_alu instid0(VALU_DEP_1) | instskip(NEXT) | instid1(VALU_DEP_1)
	v_div_fmas_f64 v[42:43], v[42:43], v[44:45], v[48:49]
	v_div_fixup_f64 v[6:7], v[42:43], v[40:41], v[6:7]
.LBB0_68:                               ;   in Loop: Header=BB0_64 Depth=1
	s_and_not1_b32 vcc_lo, exec_lo, s1
	;; [unrolled: 24-line block ×3, first 2 shown]
	s_cbranch_vccnz .LBB0_72
; %bb.71:                               ;   in Loop: Header=BB0_64 Depth=1
	global_load_b32 v39, v27, s[20:21]
	s_wait_loadcnt 0x0
	v_cvt_f64_f32_e32 v[40:41], v39
	s_delay_alu instid0(VALU_DEP_1) | instskip(NEXT) | instid1(VALU_DEP_1)
	v_div_scale_f64 v[42:43], null, v[40:41], v[40:41], v[2:3]
	v_rcp_f64_e32 v[44:45], v[42:43]
	v_nop
	s_delay_alu instid0(TRANS32_DEP_1) | instskip(NEXT) | instid1(VALU_DEP_1)
	v_fma_f64 v[46:47], -v[42:43], v[44:45], 1.0
	v_fmac_f64_e32 v[44:45], v[44:45], v[46:47]
	s_delay_alu instid0(VALU_DEP_1) | instskip(NEXT) | instid1(VALU_DEP_1)
	v_fma_f64 v[46:47], -v[42:43], v[44:45], 1.0
	v_fmac_f64_e32 v[44:45], v[44:45], v[46:47]
	v_div_scale_f64 v[46:47], vcc_lo, v[2:3], v[40:41], v[2:3]
	s_delay_alu instid0(VALU_DEP_1) | instskip(NEXT) | instid1(VALU_DEP_1)
	v_mul_f64_e32 v[48:49], v[46:47], v[44:45]
	v_fma_f64 v[42:43], -v[42:43], v[48:49], v[46:47]
	s_delay_alu instid0(VALU_DEP_1) | instskip(NEXT) | instid1(VALU_DEP_1)
	v_div_fmas_f64 v[42:43], v[42:43], v[44:45], v[48:49]
	v_div_fixup_f64 v[2:3], v[42:43], v[40:41], v[2:3]
.LBB0_72:                               ;   in Loop: Header=BB0_64 Depth=1
	s_wait_loadcnt 0x2
	s_delay_alu instid0(VALU_DEP_1) | instskip(NEXT) | instid1(VALU_DEP_2)
	v_xor_b32_e32 v43, 0x80000000, v7
	v_dual_mov_b32 v40, v0 :: v_dual_mov_b32 v42, v6
	s_delay_alu instid0(VALU_DEP_3) | instskip(NEXT) | instid1(VALU_DEP_4)
	v_xor_b32_e32 v45, 0x80000000, v5
	v_xor_b32_e32 v39, 0x80000000, v1
	s_delay_alu instid0(VALU_DEP_4) | instskip(SKIP_1) | instid1(VALU_DEP_3)
	v_dual_cndmask_b32 v43, v7, v43, s3 :: v_dual_mov_b32 v44, v4
	s_and_not1_b32 vcc_lo, exec_lo, s1
	v_cndmask_b32_e64 v45, v5, v45, s3
	s_delay_alu instid0(VALU_DEP_3) | instskip(NEXT) | instid1(VALU_DEP_3)
	v_cndmask_b32_e64 v41, v1, v39, s3
	v_mov_b64_e32 v[50:51], v[42:43]
	v_xor_b32_e32 v39, 0x80000000, v3
	v_mov_b32_e32 v48, v2
	v_mov_b64_e32 v[52:53], v[44:45]
	v_mov_b64_e32 v[46:47], v[40:41]
	s_delay_alu instid0(VALU_DEP_4) | instskip(SKIP_1) | instid1(VALU_DEP_4)
	v_cndmask_b32_e64 v49, v3, v39, s3
	v_fmac_f64_e32 v[50:51], s[12:13], v[14:15]
	v_fmac_f64_e32 v[52:53], s[12:13], v[12:13]
	s_delay_alu instid0(VALU_DEP_3) | instskip(SKIP_1) | instid1(VALU_DEP_2)
	v_mov_b64_e32 v[54:55], v[48:49]
	v_fmac_f64_e32 v[46:47], s[12:13], v[8:9]
	v_fmac_f64_e32 v[54:55], s[12:13], v[10:11]
	v_dual_cndmask_b32 v43, v43, v51, s5 :: v_dual_cndmask_b32 v42, v6, v50, s5
	v_dual_cndmask_b32 v45, v45, v53, s5 :: v_dual_cndmask_b32 v44, v4, v52, s5
	s_delay_alu instid0(VALU_DEP_4) | instskip(NEXT) | instid1(VALU_DEP_3)
	v_dual_cndmask_b32 v41, v41, v47, s5 :: v_dual_cndmask_b32 v40, v0, v46, s5
	v_mul_f64_e32 v[50:51], v[28:29], v[42:43]
	v_dual_cndmask_b32 v47, v49, v55, s5 :: v_dual_cndmask_b32 v46, v2, v54, s5
	s_delay_alu instid0(VALU_DEP_1) | instskip(SKIP_1) | instid1(VALU_DEP_3)
	v_mul_f64_e32 v[54:55], v[28:29], v[46:47]
	s_wait_loadcnt 0x0
	v_fmac_f64_e32 v[50:51], s[14:15], v[22:23]
	v_mul_f64_e32 v[52:53], v[28:29], v[44:45]
	v_mul_f64_e32 v[48:49], v[28:29], v[40:41]
	s_delay_alu instid0(VALU_DEP_4) | instskip(NEXT) | instid1(VALU_DEP_4)
	v_fmac_f64_e32 v[54:55], s[14:15], v[18:19]
	v_cndmask_b32_e64 v22, v50, v42, s4
	s_delay_alu instid0(VALU_DEP_4) | instskip(SKIP_2) | instid1(VALU_DEP_2)
	v_fmac_f64_e32 v[52:53], s[14:15], v[20:21]
	v_cndmask_b32_e64 v23, v51, v43, s4
	v_fmac_f64_e32 v[48:49], s[14:15], v[16:17]
	v_fmac_f64_e32 v[42:43], s[14:15], v[22:23]
	v_dual_cndmask_b32 v19, v55, v47, s4 :: v_dual_cndmask_b32 v18, v54, v46, s4
	s_delay_alu instid0(VALU_DEP_1) | instskip(SKIP_2) | instid1(VALU_DEP_2)
	v_fmac_f64_e32 v[46:47], s[14:15], v[18:19]
	v_dual_cndmask_b32 v21, v53, v45, s4 :: v_dual_cndmask_b32 v20, v52, v44, s4
	v_dual_cndmask_b32 v17, v49, v41, s4 :: v_dual_cndmask_b32 v16, v48, v40, s4
	v_fmac_f64_e32 v[44:45], s[14:15], v[20:21]
	v_dual_cndmask_b32 v43, v23, v43, s2 :: v_dual_cndmask_b32 v42, v22, v42, s2
	s_delay_alu instid0(VALU_DEP_3) | instskip(NEXT) | instid1(VALU_DEP_2)
	v_fmac_f64_e32 v[40:41], s[14:15], v[16:17]
	v_fma_f64 v[14:15], -v[24:25], v[42:43], v[14:15]
	v_dual_cndmask_b32 v47, v19, v47, s2 :: v_dual_cndmask_b32 v46, v18, v46, s2
	s_delay_alu instid0(VALU_DEP_1) | instskip(SKIP_2) | instid1(VALU_DEP_2)
	v_fma_f64 v[10:11], -v[24:25], v[46:47], v[10:11]
	v_dual_cndmask_b32 v45, v21, v45, s2 :: v_dual_cndmask_b32 v44, v20, v44, s2
	v_dual_cndmask_b32 v41, v17, v41, s2 :: v_dual_cndmask_b32 v40, v16, v40, s2
	v_fma_f64 v[12:13], -v[24:25], v[44:45], v[12:13]
	s_delay_alu instid0(VALU_DEP_2)
	v_fma_f64 v[8:9], -v[24:25], v[40:41], v[8:9]
	s_clause 0x1
	global_store_b128 v[36:37], v[12:15], off
	global_store_b128 v[36:37], v[8:11], off offset:16
	s_cbranch_vccnz .LBB0_63
; %bb.73:                               ;   in Loop: Header=BB0_64 Depth=1
	s_clause 0x1
	global_store_b128 v[34:35], v[4:7], off
	global_store_b128 v[34:35], v[0:3], off offset:16
	s_branch .LBB0_63
.LBB0_74:
	s_sendmsg sendmsg(MSG_DEALLOC_VGPRS)
	s_endpgm
	.section	.rodata,"a",@progbits
	.p2align	6, 0x0
	.amdhsa_kernel _ZN2at6native12_GLOBAL__N_125multi_tensor_apply_kernelINS1_18TensorListMetadataILi3EEENS1_19FusedSgdMathFunctorIdLi3EEEJddPfddbbbS7_S7_EEEvT_T0_DpT1_
		.amdhsa_group_segment_fixed_size 0
		.amdhsa_private_segment_fixed_size 0
		.amdhsa_kernarg_size 3472
		.amdhsa_user_sgpr_count 2
		.amdhsa_user_sgpr_dispatch_ptr 0
		.amdhsa_user_sgpr_queue_ptr 0
		.amdhsa_user_sgpr_kernarg_segment_ptr 1
		.amdhsa_user_sgpr_dispatch_id 0
		.amdhsa_user_sgpr_kernarg_preload_length 0
		.amdhsa_user_sgpr_kernarg_preload_offset 0
		.amdhsa_user_sgpr_private_segment_size 0
		.amdhsa_wavefront_size32 1
		.amdhsa_uses_dynamic_stack 0
		.amdhsa_enable_private_segment 0
		.amdhsa_system_sgpr_workgroup_id_x 1
		.amdhsa_system_sgpr_workgroup_id_y 0
		.amdhsa_system_sgpr_workgroup_id_z 0
		.amdhsa_system_sgpr_workgroup_info 0
		.amdhsa_system_vgpr_workitem_id 0
		.amdhsa_next_free_vgpr 72
		.amdhsa_next_free_sgpr 40
		.amdhsa_named_barrier_count 0
		.amdhsa_reserve_vcc 1
		.amdhsa_float_round_mode_32 0
		.amdhsa_float_round_mode_16_64 0
		.amdhsa_float_denorm_mode_32 3
		.amdhsa_float_denorm_mode_16_64 3
		.amdhsa_fp16_overflow 0
		.amdhsa_memory_ordered 1
		.amdhsa_forward_progress 1
		.amdhsa_inst_pref_size 30
		.amdhsa_round_robin_scheduling 0
		.amdhsa_exception_fp_ieee_invalid_op 0
		.amdhsa_exception_fp_denorm_src 0
		.amdhsa_exception_fp_ieee_div_zero 0
		.amdhsa_exception_fp_ieee_overflow 0
		.amdhsa_exception_fp_ieee_underflow 0
		.amdhsa_exception_fp_ieee_inexact 0
		.amdhsa_exception_int_div_zero 0
	.end_amdhsa_kernel
	.section	.text._ZN2at6native12_GLOBAL__N_125multi_tensor_apply_kernelINS1_18TensorListMetadataILi3EEENS1_19FusedSgdMathFunctorIdLi3EEEJddPfddbbbS7_S7_EEEvT_T0_DpT1_,"axG",@progbits,_ZN2at6native12_GLOBAL__N_125multi_tensor_apply_kernelINS1_18TensorListMetadataILi3EEENS1_19FusedSgdMathFunctorIdLi3EEEJddPfddbbbS7_S7_EEEvT_T0_DpT1_,comdat
.Lfunc_end0:
	.size	_ZN2at6native12_GLOBAL__N_125multi_tensor_apply_kernelINS1_18TensorListMetadataILi3EEENS1_19FusedSgdMathFunctorIdLi3EEEJddPfddbbbS7_S7_EEEvT_T0_DpT1_, .Lfunc_end0-_ZN2at6native12_GLOBAL__N_125multi_tensor_apply_kernelINS1_18TensorListMetadataILi3EEENS1_19FusedSgdMathFunctorIdLi3EEEJddPfddbbbS7_S7_EEEvT_T0_DpT1_
                                        ; -- End function
	.set _ZN2at6native12_GLOBAL__N_125multi_tensor_apply_kernelINS1_18TensorListMetadataILi3EEENS1_19FusedSgdMathFunctorIdLi3EEEJddPfddbbbS7_S7_EEEvT_T0_DpT1_.num_vgpr, 72
	.set _ZN2at6native12_GLOBAL__N_125multi_tensor_apply_kernelINS1_18TensorListMetadataILi3EEENS1_19FusedSgdMathFunctorIdLi3EEEJddPfddbbbS7_S7_EEEvT_T0_DpT1_.num_agpr, 0
	.set _ZN2at6native12_GLOBAL__N_125multi_tensor_apply_kernelINS1_18TensorListMetadataILi3EEENS1_19FusedSgdMathFunctorIdLi3EEEJddPfddbbbS7_S7_EEEvT_T0_DpT1_.numbered_sgpr, 40
	.set _ZN2at6native12_GLOBAL__N_125multi_tensor_apply_kernelINS1_18TensorListMetadataILi3EEENS1_19FusedSgdMathFunctorIdLi3EEEJddPfddbbbS7_S7_EEEvT_T0_DpT1_.num_named_barrier, 0
	.set _ZN2at6native12_GLOBAL__N_125multi_tensor_apply_kernelINS1_18TensorListMetadataILi3EEENS1_19FusedSgdMathFunctorIdLi3EEEJddPfddbbbS7_S7_EEEvT_T0_DpT1_.private_seg_size, 0
	.set _ZN2at6native12_GLOBAL__N_125multi_tensor_apply_kernelINS1_18TensorListMetadataILi3EEENS1_19FusedSgdMathFunctorIdLi3EEEJddPfddbbbS7_S7_EEEvT_T0_DpT1_.uses_vcc, 1
	.set _ZN2at6native12_GLOBAL__N_125multi_tensor_apply_kernelINS1_18TensorListMetadataILi3EEENS1_19FusedSgdMathFunctorIdLi3EEEJddPfddbbbS7_S7_EEEvT_T0_DpT1_.uses_flat_scratch, 0
	.set _ZN2at6native12_GLOBAL__N_125multi_tensor_apply_kernelINS1_18TensorListMetadataILi3EEENS1_19FusedSgdMathFunctorIdLi3EEEJddPfddbbbS7_S7_EEEvT_T0_DpT1_.has_dyn_sized_stack, 0
	.set _ZN2at6native12_GLOBAL__N_125multi_tensor_apply_kernelINS1_18TensorListMetadataILi3EEENS1_19FusedSgdMathFunctorIdLi3EEEJddPfddbbbS7_S7_EEEvT_T0_DpT1_.has_recursion, 0
	.set _ZN2at6native12_GLOBAL__N_125multi_tensor_apply_kernelINS1_18TensorListMetadataILi3EEENS1_19FusedSgdMathFunctorIdLi3EEEJddPfddbbbS7_S7_EEEvT_T0_DpT1_.has_indirect_call, 0
	.section	.AMDGPU.csdata,"",@progbits
; Kernel info:
; codeLenInByte = 3840
; TotalNumSgprs: 42
; NumVgprs: 72
; ScratchSize: 0
; MemoryBound: 1
; FloatMode: 240
; IeeeMode: 1
; LDSByteSize: 0 bytes/workgroup (compile time only)
; SGPRBlocks: 0
; VGPRBlocks: 4
; NumSGPRsForWavesPerEU: 42
; NumVGPRsForWavesPerEU: 72
; NamedBarCnt: 0
; Occupancy: 12
; WaveLimiterHint : 0
; COMPUTE_PGM_RSRC2:SCRATCH_EN: 0
; COMPUTE_PGM_RSRC2:USER_SGPR: 2
; COMPUTE_PGM_RSRC2:TRAP_HANDLER: 0
; COMPUTE_PGM_RSRC2:TGID_X_EN: 1
; COMPUTE_PGM_RSRC2:TGID_Y_EN: 0
; COMPUTE_PGM_RSRC2:TGID_Z_EN: 0
; COMPUTE_PGM_RSRC2:TIDIG_COMP_CNT: 0
	.section	.text._ZN2at6native12_GLOBAL__N_125multi_tensor_apply_kernelINS1_18TensorListMetadataILi3EEENS1_19FusedSgdMathFunctorIfLi3EEEJddPfddbbbS7_S7_EEEvT_T0_DpT1_,"axG",@progbits,_ZN2at6native12_GLOBAL__N_125multi_tensor_apply_kernelINS1_18TensorListMetadataILi3EEENS1_19FusedSgdMathFunctorIfLi3EEEJddPfddbbbS7_S7_EEEvT_T0_DpT1_,comdat
	.globl	_ZN2at6native12_GLOBAL__N_125multi_tensor_apply_kernelINS1_18TensorListMetadataILi3EEENS1_19FusedSgdMathFunctorIfLi3EEEJddPfddbbbS7_S7_EEEvT_T0_DpT1_ ; -- Begin function _ZN2at6native12_GLOBAL__N_125multi_tensor_apply_kernelINS1_18TensorListMetadataILi3EEENS1_19FusedSgdMathFunctorIfLi3EEEJddPfddbbbS7_S7_EEEvT_T0_DpT1_
	.p2align	8
	.type	_ZN2at6native12_GLOBAL__N_125multi_tensor_apply_kernelINS1_18TensorListMetadataILi3EEENS1_19FusedSgdMathFunctorIfLi3EEEJddPfddbbbS7_S7_EEEvT_T0_DpT1_,@function
_ZN2at6native12_GLOBAL__N_125multi_tensor_apply_kernelINS1_18TensorListMetadataILi3EEENS1_19FusedSgdMathFunctorIfLi3EEEJddPfddbbbS7_S7_EEEvT_T0_DpT1_: ; @_ZN2at6native12_GLOBAL__N_125multi_tensor_apply_kernelINS1_18TensorListMetadataILi3EEENS1_19FusedSgdMathFunctorIfLi3EEEJddPfddbbbS7_S7_EEEvT_T0_DpT1_
; %bb.0:
	s_load_b128 s[12:15], s[0:1], 0xc80
	s_wait_kmcnt 0x0
	s_cmp_eq_u64 s[14:15], 0
	s_cselect_b32 s2, -1, 0
	s_delay_alu instid0(SALU_CYCLE_1)
	s_and_b32 vcc_lo, exec_lo, s2
	s_cbranch_vccnz .LBB1_2
; %bb.1:
	s_load_b32 s2, s[14:15], 0x0
	s_wait_kmcnt 0x0
	s_cmp_neq_f32 s2, 1.0
	s_cselect_b32 s2, -1, 0
.LBB1_2:
	s_delay_alu instid0(SALU_CYCLE_1)
	s_and_not1_b32 vcc_lo, exec_lo, s2
	s_cbranch_vccnz .LBB1_75
; %bb.3:
	s_bfe_u32 s2, ttmp6, 0x4000c
	s_and_b32 s3, ttmp6, 15
	s_add_co_i32 s2, s2, 1
	s_getreg_b32 s4, hwreg(HW_REG_IB_STS2, 6, 4)
	s_mul_i32 s2, ttmp9, s2
	s_delay_alu instid0(SALU_CYCLE_1)
	s_add_co_i32 s3, s3, s2
	s_cmp_eq_u32 s4, 0
	s_cselect_b32 s2, ttmp9, s3
	s_mov_b32 s3, 0
	v_mov_b32_e32 v1, s2
	s_add_nc_u64 s[16:17], s[0:1], s[2:3]
	s_mul_u64 s[20:21], s[2:3], 3
	s_delay_alu instid0(SALU_CYCLE_1)
	s_add_nc_u64 s[16:17], s[16:17], s[20:21]
	global_load_u8 v1, v1, s[0:1] offset:1536
	s_clause 0x1
	s_load_b256 s[4:11], s[0:1], 0xc50
	s_load_b64 s[14:15], s[0:1], 0xc70
	s_wait_kmcnt 0x0
	s_cmp_eq_u64 s[8:9], 0
	s_wait_loadcnt 0x0
	v_readfirstlane_b32 s19, v1
	s_cbranch_scc1 .LBB1_76
; %bb.4:
	s_load_b32 s2, s[8:9], 0x0
	s_load_b32 s18, s[16:17], 0x740
	s_wait_kmcnt 0x0
	v_mov_b32_e32 v34, s2
	s_and_not1_b32 vcc_lo, exec_lo, s3
	s_cbranch_vccnz .LBB1_6
.LBB1_5:
	v_cvt_f32_f64_e32 v34, s[10:11]
.LBB1_6:
	s_load_b32 s3, s[0:1], 0xc78
	v_cvt_f32_f64_e32 v35, s[4:5]
	v_cvt_f32_f64_e32 v36, s[6:7]
	v_cvt_f32_f64_e32 v37, s[14:15]
	s_mov_b32 s7, 0
	s_delay_alu instid0(SALU_CYCLE_1)
	s_mov_b32 s23, s7
	s_wait_kmcnt 0x0
	s_bitcmp1_b32 s3, 0
	s_cselect_b32 s2, -1, 0
	s_bitcmp1_b32 s3, 8
	s_cselect_b32 s28, -1, 0
	;; [unrolled: 2-line block ×3, first 2 shown]
	s_and_b32 s10, s19, 0xff
	s_clause 0x3
	s_load_b64 s[8:9], s[0:1], s10 offset:0x0 scale_offset
	s_load_b64 s[24:25], s[0:1], s10 offset:0x180 scale_offset
	;; [unrolled: 1-line block ×4, first 2 shown]
	s_ashr_i32 s19, s18, 31
	s_delay_alu instid0(SALU_CYCLE_1)
	s_lshl_b64 s[20:21], s[18:19], 18
	s_lshl_b64 s[18:19], s[18:19], 16
	s_wait_kmcnt 0x0
	s_add_nc_u64 s[10:11], s[8:9], s[20:21]
	s_add_nc_u64 s[16:17], s[24:25], s[20:21]
	;; [unrolled: 1-line block ×3, first 2 shown]
	s_and_b64 s[30:31], s[4:5], 3
	s_and_b32 s22, s14, 15
	s_and_b32 s6, s16, 15
	s_or_b64 s[22:23], s[30:31], s[22:23]
	s_and_b64 s[30:31], s[10:11], 15
	s_or_b64 s[6:7], s[22:23], s[6:7]
	s_sub_nc_u64 s[18:19], s[4:5], s[18:19]
	s_or_b64 s[6:7], s[6:7], s[30:31]
	s_mov_b32 s4, -1
	s_cmp_eq_u64 s[6:7], 0
	s_cbranch_scc1 .LBB1_61
; %bb.7:
	v_cmp_lt_i64_e64 s4, s[18:19], 1
	s_and_b32 vcc_lo, exec_lo, s4
	s_cbranch_vccnz .LBB1_60
; %bb.8:
	s_load_b32 s5, s[0:1], 0xc9c
	v_min_i64 v[2:3], 0x10000, s[18:19]
	v_dual_mov_b32 v1, 0 :: v_dual_lshlrev_b32 v12, 2, v0
	s_mov_b32 s7, 0
	v_cmp_neq_f32_e64 s4, 0, v35
	s_mov_b32 s37, s7
	v_dual_mov_b32 v13, v1 :: v_dual_mov_b32 v33, v1
	s_mov_b32 s31, s7
	s_mov_b32 s35, s7
	s_mov_b64 s[22:23], 0
	s_delay_alu instid0(VALU_DEP_1)
	v_add_nc_u64_e32 v[4:5], s[8:9], v[12:13]
	v_add_nc_u64_e32 v[6:7], s[24:25], v[12:13]
	;; [unrolled: 1-line block ×3, first 2 shown]
	v_sub_f32_e32 v38, 1.0, v37
	s_wait_kmcnt 0x0
	s_and_b32 s6, s5, 0xffff
	s_delay_alu instid0(SALU_CYCLE_1)
	s_lshl_b32 s30, s6, 1
	v_add_nc_u64_e32 v[10:11], s[6:7], v[0:1]
	v_mad_nc_u64_u32 v[20:21], s6, 12, v[12:13]
	s_cmp_lg_u64 s[12:13], 0
	s_mul_i32 s34, s6, 3
	s_cselect_b32 s29, -1, 0
	s_lshl_b32 s36, s6, 3
	v_add_nc_u64_e32 v[14:15], s[30:31], v[0:1]
	v_add_nc_u64_e32 v[26:27], s[36:37], v[12:13]
	v_lshlrev_b32_e32 v32, 2, v10
	v_add_nc_u64_e32 v[12:13], s[34:35], v[0:1]
	v_add_nc_u64_e32 v[16:17], s[8:9], v[20:21]
	;; [unrolled: 1-line block ×10, first 2 shown]
	s_lshl_b32 s24, s6, 2
	s_mov_b32 s25, s7
	s_lshl_b32 s26, s6, 4
	s_mov_b32 s27, s7
	s_branch .LBB1_10
.LBB1_9:                                ;   in Loop: Header=BB1_10 Depth=1
	s_wait_xcnt 0x0
	s_or_b32 exec_lo, exec_lo, s5
	s_add_nc_u64 s[22:23], s[22:23], s[24:25]
	v_add_nc_u64_e32 v[4:5], s[26:27], v[4:5]
	v_cmp_lt_i64_e32 vcc_lo, s[22:23], v[2:3]
	v_add_nc_u64_e32 v[6:7], s[26:27], v[6:7]
	v_add_nc_u64_e32 v[8:9], s[26:27], v[8:9]
	;; [unrolled: 1-line block ×11, first 2 shown]
	s_cbranch_vccz .LBB1_60
.LBB1_10:                               ; =>This Inner Loop Header: Depth=1
	v_add_nc_u64_e32 v[40:41], s[22:23], v[0:1]
	v_dual_mov_b32 v39, 0 :: v_dual_mov_b32 v43, 0
	s_delay_alu instid0(VALU_DEP_2)
	v_cmp_lt_i64_e64 s5, v[40:41], v[2:3]
	s_and_saveexec_b32 s6, s5
	s_cbranch_execz .LBB1_12
; %bb.11:                               ;   in Loop: Header=BB1_10 Depth=1
	v_add_nc_u64_e32 v[40:41], s[20:21], v[4:5]
	v_add_nc_u64_e32 v[44:45], s[20:21], v[6:7]
	global_load_b32 v43, v[40:41], off
	global_load_b32 v39, v[44:45], off
.LBB1_12:                               ;   in Loop: Header=BB1_10 Depth=1
	s_wait_xcnt 0x0
	s_or_b32 exec_lo, exec_lo, s6
	v_dual_mov_b32 v40, 0 :: v_dual_mov_b32 v46, 0
	s_and_saveexec_b32 s6, s5
	s_cbranch_execz .LBB1_14
; %bb.13:                               ;   in Loop: Header=BB1_10 Depth=1
	v_add_nc_u64_e32 v[44:45], s[20:21], v[8:9]
	global_load_b32 v46, v[44:45], off
.LBB1_14:                               ;   in Loop: Header=BB1_10 Depth=1
	s_wait_xcnt 0x0
	s_or_b32 exec_lo, exec_lo, s6
	v_add_nc_u64_e32 v[44:45], s[22:23], v[10:11]
	s_delay_alu instid0(VALU_DEP_1)
	v_cmp_lt_i64_e64 s6, v[44:45], v[2:3]
	v_mov_b32_e32 v44, 0
	s_and_saveexec_b32 s7, s6
	s_cbranch_execz .LBB1_16
; %bb.15:                               ;   in Loop: Header=BB1_10 Depth=1
	v_add_nc_u64_e32 v[48:49], s[20:21], v[28:29]
	v_add_nc_u64_e32 v[50:51], s[20:21], v[30:31]
	global_load_b32 v44, v[48:49], off
	global_load_b32 v40, v[50:51], off
.LBB1_16:                               ;   in Loop: Header=BB1_10 Depth=1
	s_wait_xcnt 0x0
	s_or_b32 exec_lo, exec_lo, s7
	v_dual_mov_b32 v41, 0 :: v_dual_mov_b32 v48, 0
	s_and_saveexec_b32 s7, s6
	s_cbranch_execz .LBB1_18
; %bb.17:                               ;   in Loop: Header=BB1_10 Depth=1
	v_add_nc_u64_e32 v[48:49], s[20:21], v[32:33]
	global_load_b32 v48, v[48:49], off
.LBB1_18:                               ;   in Loop: Header=BB1_10 Depth=1
	s_wait_xcnt 0x0
	s_or_b32 exec_lo, exec_lo, s7
	v_add_nc_u64_e32 v[50:51], s[22:23], v[14:15]
	v_mov_b32_e32 v45, 0
	s_delay_alu instid0(VALU_DEP_2)
	v_cmp_lt_i64_e64 s7, v[50:51], v[2:3]
	s_and_saveexec_b32 s8, s7
	s_cbranch_execz .LBB1_20
; %bb.19:                               ;   in Loop: Header=BB1_10 Depth=1
	v_add_nc_u64_e32 v[50:51], s[20:21], v[22:23]
	v_add_nc_u64_e32 v[52:53], s[20:21], v[24:25]
	global_load_b32 v45, v[50:51], off
	global_load_b32 v41, v[52:53], off
.LBB1_20:                               ;   in Loop: Header=BB1_10 Depth=1
	s_wait_xcnt 0x0
	s_or_b32 exec_lo, exec_lo, s8
	v_dual_mov_b32 v42, 0 :: v_dual_mov_b32 v49, 0
	s_and_saveexec_b32 s8, s7
	s_cbranch_execz .LBB1_22
; %bb.21:                               ;   in Loop: Header=BB1_10 Depth=1
	v_add_nc_u64_e32 v[50:51], s[20:21], v[26:27]
	global_load_b32 v49, v[50:51], off
.LBB1_22:                               ;   in Loop: Header=BB1_10 Depth=1
	s_wait_xcnt 0x0
	s_or_b32 exec_lo, exec_lo, s8
	v_add_nc_u64_e32 v[50:51], s[22:23], v[12:13]
	v_mov_b32_e32 v47, 0
	s_delay_alu instid0(VALU_DEP_2)
	v_cmp_lt_i64_e64 s8, v[50:51], v[2:3]
	s_and_saveexec_b32 s9, s8
	s_cbranch_execnz .LBB1_51
; %bb.23:                               ;   in Loop: Header=BB1_10 Depth=1
	s_or_b32 exec_lo, exec_lo, s9
	v_mov_b32_e32 v50, 0
	s_and_saveexec_b32 s9, s8
	s_cbranch_execnz .LBB1_52
.LBB1_24:                               ;   in Loop: Header=BB1_10 Depth=1
	s_or_b32 exec_lo, exec_lo, s9
	s_delay_alu instid0(SALU_CYCLE_1)
	s_and_not1_b32 vcc_lo, exec_lo, s29
	s_cbranch_vccnz .LBB1_26
.LBB1_25:                               ;   in Loop: Header=BB1_10 Depth=1
	global_load_b32 v51, v1, s[12:13]
	s_wait_loadcnt 0x0
	v_div_scale_f32 v52, null, v51, v51, v39
	s_delay_alu instid0(VALU_DEP_1) | instskip(SKIP_1) | instid1(TRANS32_DEP_1)
	v_rcp_f32_e32 v53, v52
	v_nop
	v_fma_f32 v54, -v52, v53, 1.0
	s_delay_alu instid0(VALU_DEP_1) | instskip(SKIP_1) | instid1(VALU_DEP_1)
	v_fmac_f32_e32 v53, v54, v53
	v_div_scale_f32 v54, vcc_lo, v39, v51, v39
	v_mul_f32_e32 v55, v54, v53
	s_delay_alu instid0(VALU_DEP_1) | instskip(NEXT) | instid1(VALU_DEP_1)
	v_fma_f32 v56, -v52, v55, v54
	v_fmac_f32_e32 v55, v56, v53
	s_delay_alu instid0(VALU_DEP_1) | instskip(NEXT) | instid1(VALU_DEP_1)
	v_fma_f32 v52, -v52, v55, v54
	v_div_fmas_f32 v52, v52, v53, v55
	s_delay_alu instid0(VALU_DEP_1)
	v_div_fixup_f32 v39, v52, v51, v39
.LBB1_26:                               ;   in Loop: Header=BB1_10 Depth=1
	s_and_not1_b32 vcc_lo, exec_lo, s29
	s_cbranch_vccnz .LBB1_28
; %bb.27:                               ;   in Loop: Header=BB1_10 Depth=1
	global_load_b32 v51, v1, s[12:13]
	s_wait_loadcnt 0x0
	v_div_scale_f32 v52, null, v51, v51, v40
	s_delay_alu instid0(VALU_DEP_1) | instskip(SKIP_1) | instid1(TRANS32_DEP_1)
	v_rcp_f32_e32 v53, v52
	v_nop
	v_fma_f32 v54, -v52, v53, 1.0
	s_delay_alu instid0(VALU_DEP_1) | instskip(SKIP_1) | instid1(VALU_DEP_1)
	v_fmac_f32_e32 v53, v54, v53
	v_div_scale_f32 v54, vcc_lo, v40, v51, v40
	v_mul_f32_e32 v55, v54, v53
	s_delay_alu instid0(VALU_DEP_1) | instskip(NEXT) | instid1(VALU_DEP_1)
	v_fma_f32 v56, -v52, v55, v54
	v_fmac_f32_e32 v55, v56, v53
	s_delay_alu instid0(VALU_DEP_1) | instskip(NEXT) | instid1(VALU_DEP_1)
	v_fma_f32 v52, -v52, v55, v54
	v_div_fmas_f32 v52, v52, v53, v55
	s_delay_alu instid0(VALU_DEP_1)
	v_div_fixup_f32 v40, v52, v51, v40
.LBB1_28:                               ;   in Loop: Header=BB1_10 Depth=1
	s_and_not1_b32 vcc_lo, exec_lo, s29
	s_cbranch_vccnz .LBB1_30
; %bb.29:                               ;   in Loop: Header=BB1_10 Depth=1
	global_load_b32 v51, v1, s[12:13]
	s_wait_loadcnt 0x0
	v_div_scale_f32 v52, null, v51, v51, v41
	s_delay_alu instid0(VALU_DEP_1) | instskip(SKIP_1) | instid1(TRANS32_DEP_1)
	v_rcp_f32_e32 v53, v52
	v_nop
	v_fma_f32 v54, -v52, v53, 1.0
	s_delay_alu instid0(VALU_DEP_1) | instskip(SKIP_1) | instid1(VALU_DEP_1)
	v_fmac_f32_e32 v53, v54, v53
	v_div_scale_f32 v54, vcc_lo, v41, v51, v41
	v_mul_f32_e32 v55, v54, v53
	s_delay_alu instid0(VALU_DEP_1) | instskip(NEXT) | instid1(VALU_DEP_1)
	v_fma_f32 v56, -v52, v55, v54
	v_fmac_f32_e32 v55, v56, v53
	s_delay_alu instid0(VALU_DEP_1) | instskip(NEXT) | instid1(VALU_DEP_1)
	v_fma_f32 v52, -v52, v55, v54
	v_div_fmas_f32 v52, v52, v53, v55
	s_delay_alu instid0(VALU_DEP_1)
	v_div_fixup_f32 v41, v52, v51, v41
.LBB1_30:                               ;   in Loop: Header=BB1_10 Depth=1
	;; [unrolled: 23-line block ×3, first 2 shown]
	s_wait_loadcnt 0x0
	v_cndmask_b32_e64 v51, v39, -v39, s28
	s_delay_alu instid0(VALU_DEP_1) | instskip(NEXT) | instid1(VALU_DEP_1)
	v_fma_f32 v52, v43, v35, v51
	v_cndmask_b32_e64 v51, v51, v52, s4
	s_delay_alu instid0(VALU_DEP_1) | instskip(NEXT) | instid1(VALU_DEP_1)
	v_mul_f32_e32 v52, v38, v51
	v_fmac_f32_e32 v52, v46, v36
	s_delay_alu instid0(VALU_DEP_1)
	v_cndmask_b32_e64 v46, v52, v51, s3
	s_wait_xcnt 0x0
	s_and_saveexec_b32 s9, s5
	s_cbranch_execz .LBB1_34
; %bb.33:                               ;   in Loop: Header=BB1_10 Depth=1
	s_delay_alu instid0(VALU_DEP_1) | instskip(SKIP_1) | instid1(VALU_DEP_2)
	v_fmac_f32_e32 v51, v46, v36
	v_add_nc_u64_e32 v[52:53], s[20:21], v[4:5]
	v_cndmask_b32_e64 v51, v46, v51, s2
	s_delay_alu instid0(VALU_DEP_1)
	v_fma_f32 v43, -v34, v51, v43
	global_store_b32 v[52:53], v43, off
.LBB1_34:                               ;   in Loop: Header=BB1_10 Depth=1
	s_wait_xcnt 0x0
	s_or_b32 exec_lo, exec_lo, s9
	v_cndmask_b32_e64 v43, v40, -v40, s28
	s_delay_alu instid0(VALU_DEP_1) | instskip(NEXT) | instid1(VALU_DEP_1)
	v_fma_f32 v51, v44, v35, v43
	v_cndmask_b32_e64 v51, v43, v51, s4
	s_delay_alu instid0(VALU_DEP_1) | instskip(NEXT) | instid1(VALU_DEP_1)
	v_mul_f32_e32 v43, v38, v51
	v_fmac_f32_e32 v43, v48, v36
	s_delay_alu instid0(VALU_DEP_1)
	v_cndmask_b32_e64 v43, v43, v51, s3
	s_and_saveexec_b32 s9, s6
	s_cbranch_execz .LBB1_36
; %bb.35:                               ;   in Loop: Header=BB1_10 Depth=1
	s_delay_alu instid0(VALU_DEP_1) | instskip(SKIP_1) | instid1(VALU_DEP_2)
	v_fmac_f32_e32 v51, v43, v36
	v_add_nc_u64_e32 v[52:53], s[20:21], v[28:29]
	v_cndmask_b32_e64 v48, v43, v51, s2
	s_delay_alu instid0(VALU_DEP_1)
	v_fma_f32 v44, -v34, v48, v44
	global_store_b32 v[52:53], v44, off
.LBB1_36:                               ;   in Loop: Header=BB1_10 Depth=1
	s_wait_xcnt 0x0
	s_or_b32 exec_lo, exec_lo, s9
	v_cndmask_b32_e64 v44, v41, -v41, s28
	s_delay_alu instid0(VALU_DEP_1) | instskip(NEXT) | instid1(VALU_DEP_1)
	v_fma_f32 v48, v45, v35, v44
	v_cndmask_b32_e64 v48, v44, v48, s4
	s_delay_alu instid0(VALU_DEP_1) | instskip(NEXT) | instid1(VALU_DEP_1)
	v_mul_f32_e32 v44, v38, v48
	v_fmac_f32_e32 v44, v49, v36
	s_delay_alu instid0(VALU_DEP_1)
	v_cndmask_b32_e64 v44, v44, v48, s3
	s_and_saveexec_b32 s9, s7
	s_cbranch_execz .LBB1_38
; %bb.37:                               ;   in Loop: Header=BB1_10 Depth=1
	s_delay_alu instid0(VALU_DEP_1) | instskip(NEXT) | instid1(VALU_DEP_1)
	v_fmac_f32_e32 v48, v44, v36
	v_cndmask_b32_e64 v51, v44, v48, s2
	v_add_nc_u64_e32 v[48:49], s[20:21], v[22:23]
	s_delay_alu instid0(VALU_DEP_2)
	v_fma_f32 v45, -v34, v51, v45
	global_store_b32 v[48:49], v45, off
.LBB1_38:                               ;   in Loop: Header=BB1_10 Depth=1
	s_wait_xcnt 0x0
	s_or_b32 exec_lo, exec_lo, s9
	v_cndmask_b32_e64 v45, v42, -v42, s28
	s_delay_alu instid0(VALU_DEP_1) | instskip(NEXT) | instid1(VALU_DEP_1)
	v_fma_f32 v48, v47, v35, v45
	v_cndmask_b32_e64 v48, v45, v48, s4
	s_delay_alu instid0(VALU_DEP_1) | instskip(NEXT) | instid1(VALU_DEP_1)
	v_mul_f32_e32 v45, v38, v48
	v_fmac_f32_e32 v45, v50, v36
	s_delay_alu instid0(VALU_DEP_1)
	v_cndmask_b32_e64 v45, v45, v48, s3
	s_and_saveexec_b32 s9, s8
	s_cbranch_execz .LBB1_40
; %bb.39:                               ;   in Loop: Header=BB1_10 Depth=1
	s_delay_alu instid0(VALU_DEP_1) | instskip(NEXT) | instid1(VALU_DEP_1)
	v_fmac_f32_e32 v48, v45, v36
	v_cndmask_b32_e64 v50, v45, v48, s2
	v_add_nc_u64_e32 v[48:49], s[20:21], v[16:17]
	s_delay_alu instid0(VALU_DEP_2)
	v_fma_f32 v47, -v34, v50, v47
	global_store_b32 v[48:49], v47, off
.LBB1_40:                               ;   in Loop: Header=BB1_10 Depth=1
	s_wait_xcnt 0x0
	s_or_b32 exec_lo, exec_lo, s9
	s_delay_alu instid0(SALU_CYCLE_1)
	s_and_not1_b32 vcc_lo, exec_lo, s29
	s_cbranch_vccnz .LBB1_47
; %bb.41:                               ;   in Loop: Header=BB1_10 Depth=1
	s_and_saveexec_b32 s9, s5
	s_cbranch_execnz .LBB1_57
; %bb.42:                               ;   in Loop: Header=BB1_10 Depth=1
	s_or_b32 exec_lo, exec_lo, s9
	s_and_saveexec_b32 s9, s6
	s_cbranch_execnz .LBB1_58
.LBB1_43:                               ;   in Loop: Header=BB1_10 Depth=1
	s_or_b32 exec_lo, exec_lo, s9
	s_and_saveexec_b32 s9, s7
	s_cbranch_execnz .LBB1_59
.LBB1_44:                               ;   in Loop: Header=BB1_10 Depth=1
	s_or_b32 exec_lo, exec_lo, s9
	s_and_saveexec_b32 s9, s8
	s_cbranch_execz .LBB1_46
.LBB1_45:                               ;   in Loop: Header=BB1_10 Depth=1
	v_add_nc_u64_e32 v[40:41], s[20:21], v[18:19]
	global_store_b32 v[40:41], v42, off
.LBB1_46:                               ;   in Loop: Header=BB1_10 Depth=1
	s_wait_xcnt 0x0
	s_or_b32 exec_lo, exec_lo, s9
.LBB1_47:                               ;   in Loop: Header=BB1_10 Depth=1
	s_and_saveexec_b32 s9, s5
	s_cbranch_execnz .LBB1_53
; %bb.48:                               ;   in Loop: Header=BB1_10 Depth=1
	s_or_b32 exec_lo, exec_lo, s9
	s_and_saveexec_b32 s5, s6
	s_cbranch_execnz .LBB1_54
.LBB1_49:                               ;   in Loop: Header=BB1_10 Depth=1
	s_or_b32 exec_lo, exec_lo, s5
	s_and_saveexec_b32 s5, s7
	s_cbranch_execnz .LBB1_55
.LBB1_50:                               ;   in Loop: Header=BB1_10 Depth=1
	s_or_b32 exec_lo, exec_lo, s5
	s_and_saveexec_b32 s5, s8
	s_cbranch_execz .LBB1_9
	s_branch .LBB1_56
.LBB1_51:                               ;   in Loop: Header=BB1_10 Depth=1
	v_add_nc_u64_e32 v[50:51], s[20:21], v[16:17]
	v_add_nc_u64_e32 v[52:53], s[20:21], v[18:19]
	global_load_b32 v47, v[50:51], off
	global_load_b32 v42, v[52:53], off
	s_wait_xcnt 0x0
	s_or_b32 exec_lo, exec_lo, s9
	v_mov_b32_e32 v50, 0
	s_and_saveexec_b32 s9, s8
	s_cbranch_execz .LBB1_24
.LBB1_52:                               ;   in Loop: Header=BB1_10 Depth=1
	v_add_nc_u64_e32 v[50:51], s[20:21], v[20:21]
	global_load_b32 v50, v[50:51], off
	s_wait_xcnt 0x0
	s_or_b32 exec_lo, exec_lo, s9
	s_delay_alu instid0(SALU_CYCLE_1)
	s_and_not1_b32 vcc_lo, exec_lo, s29
	s_cbranch_vccz .LBB1_25
	s_branch .LBB1_26
.LBB1_53:                               ;   in Loop: Header=BB1_10 Depth=1
	v_add_nc_u64_e32 v[40:41], s[20:21], v[8:9]
	global_store_b32 v[40:41], v46, off
	s_wait_xcnt 0x0
	s_or_b32 exec_lo, exec_lo, s9
	s_and_saveexec_b32 s5, s6
	s_cbranch_execz .LBB1_49
.LBB1_54:                               ;   in Loop: Header=BB1_10 Depth=1
	v_add_nc_u64_e32 v[40:41], s[20:21], v[32:33]
	global_store_b32 v[40:41], v43, off
	s_wait_xcnt 0x0
	s_or_b32 exec_lo, exec_lo, s5
	s_and_saveexec_b32 s5, s7
	s_cbranch_execz .LBB1_50
.LBB1_55:                               ;   in Loop: Header=BB1_10 Depth=1
	v_add_nc_u64_e32 v[40:41], s[20:21], v[26:27]
	global_store_b32 v[40:41], v44, off
	s_wait_xcnt 0x0
	s_or_b32 exec_lo, exec_lo, s5
	s_and_saveexec_b32 s5, s8
	s_cbranch_execz .LBB1_9
.LBB1_56:                               ;   in Loop: Header=BB1_10 Depth=1
	v_add_nc_u64_e32 v[40:41], s[20:21], v[20:21]
	global_store_b32 v[40:41], v45, off
	s_branch .LBB1_9
.LBB1_57:                               ;   in Loop: Header=BB1_10 Depth=1
	v_add_nc_u64_e32 v[48:49], s[20:21], v[6:7]
	global_store_b32 v[48:49], v39, off
	s_wait_xcnt 0x0
	s_or_b32 exec_lo, exec_lo, s9
	s_and_saveexec_b32 s9, s6
	s_cbranch_execz .LBB1_43
.LBB1_58:                               ;   in Loop: Header=BB1_10 Depth=1
	v_add_nc_u64_e32 v[48:49], s[20:21], v[30:31]
	global_store_b32 v[48:49], v40, off
	s_wait_xcnt 0x0
	s_or_b32 exec_lo, exec_lo, s9
	s_and_saveexec_b32 s9, s7
	s_cbranch_execz .LBB1_44
.LBB1_59:                               ;   in Loop: Header=BB1_10 Depth=1
	v_add_nc_u64_e32 v[48:49], s[20:21], v[24:25]
	global_store_b32 v[48:49], v41, off
	s_wait_xcnt 0x0
	s_or_b32 exec_lo, exec_lo, s9
	s_and_saveexec_b32 s9, s8
	s_cbranch_execnz .LBB1_45
	s_branch .LBB1_46
.LBB1_60:
	s_mov_b32 s4, 0
.LBB1_61:
	s_delay_alu instid0(SALU_CYCLE_1)
	s_and_not1_b32 vcc_lo, exec_lo, s4
	s_cbranch_vccnz .LBB1_75
; %bb.62:
	v_dual_mov_b32 v13, 0 :: v_dual_lshlrev_b32 v12, 2, v0
	s_mov_b32 s4, exec_lo
	s_delay_alu instid0(VALU_DEP_1)
	v_cmpx_gt_i64_e64 s[18:19], v[12:13]
	s_cbranch_execz .LBB1_75
; %bb.63:
	s_load_b32 s0, s[0:1], 0xc9c
	s_cmp_lg_u64 s[12:13], 0
	v_dual_mov_b32 v1, v13 :: v_dual_sub_f32 v22, 1.0, v37
	s_cselect_b32 s6, -1, 0
	s_mov_b32 s5, 0
	s_delay_alu instid0(SALU_CYCLE_1)
	s_mov_b32 s8, s5
	s_wait_kmcnt 0x0
	s_and_b32 s7, s0, 0xffff
	v_cmp_neq_f32_e64 s0, 0, v35
	v_add_lshl_u32 v12, v0, s7, 2
	v_add_nc_u32_e32 v23, s7, v0
	s_lshl_b32 s4, s7, 2
	s_delay_alu instid0(VALU_DEP_2)
	v_mov_b64_e32 v[14:15], v[12:13]
	v_mov_b32_e32 v12, v0
	s_branch .LBB1_65
.LBB1_64:                               ;   in Loop: Header=BB1_65 Depth=1
	v_cmp_le_u64_e32 vcc_lo, s[18:19], v[14:15]
	v_add_nc_u32_e32 v12, s7, v12
	v_cmp_lt_u32_e64 s1, 0x3fff, v23
	v_add_nc_u32_e32 v23, s7, v23
	v_add_nc_u64_e32 v[14:15], s[4:5], v[14:15]
	global_store_b128 v[16:17], v[8:11], off
	s_wait_xcnt 0x1
	v_mov_b64_e32 v[0:1], v[12:13]
	s_or_b32 s1, vcc_lo, s1
	s_delay_alu instid0(SALU_CYCLE_1) | instskip(NEXT) | instid1(SALU_CYCLE_1)
	s_and_b32 s1, exec_lo, s1
	s_or_b32 s8, s1, s8
	s_wait_xcnt 0x0
	s_and_not1_b32 exec_lo, exec_lo, s8
	s_cbranch_execz .LBB1_75
.LBB1_65:                               ; =>This Inner Loop Header: Depth=1
	v_lshlrev_b64_e32 v[0:1], 4, v[0:1]
	s_and_not1_b32 vcc_lo, exec_lo, s6
	s_delay_alu instid0(VALU_DEP_1)
	v_add_nc_u64_e32 v[20:21], s[10:11], v[0:1]
	v_add_nc_u64_e32 v[18:19], s[16:17], v[0:1]
	v_add_nc_u64_e32 v[16:17], s[14:15], v[0:1]
	global_load_b128 v[4:7], v[20:21], off
	global_load_b128 v[0:3], v[18:19], off
	;; [unrolled: 1-line block ×3, first 2 shown]
	s_cbranch_vccnz .LBB1_67
; %bb.66:                               ;   in Loop: Header=BB1_65 Depth=1
	global_load_b32 v24, v13, s[12:13]
	s_wait_loadcnt 0x0
	v_div_scale_f32 v25, null, v24, v24, v0
	s_delay_alu instid0(VALU_DEP_1) | instskip(SKIP_1) | instid1(TRANS32_DEP_1)
	v_rcp_f32_e32 v26, v25
	v_nop
	v_fma_f32 v27, -v25, v26, 1.0
	s_delay_alu instid0(VALU_DEP_1) | instskip(SKIP_1) | instid1(VALU_DEP_1)
	v_fmac_f32_e32 v26, v27, v26
	v_div_scale_f32 v27, vcc_lo, v0, v24, v0
	v_mul_f32_e32 v28, v27, v26
	s_delay_alu instid0(VALU_DEP_1) | instskip(NEXT) | instid1(VALU_DEP_1)
	v_fma_f32 v29, -v25, v28, v27
	v_fmac_f32_e32 v28, v29, v26
	s_delay_alu instid0(VALU_DEP_1) | instskip(NEXT) | instid1(VALU_DEP_1)
	v_fma_f32 v25, -v25, v28, v27
	v_div_fmas_f32 v25, v25, v26, v28
	s_delay_alu instid0(VALU_DEP_1)
	v_div_fixup_f32 v0, v25, v24, v0
.LBB1_67:                               ;   in Loop: Header=BB1_65 Depth=1
	s_and_not1_b32 vcc_lo, exec_lo, s6
	s_cbranch_vccnz .LBB1_69
; %bb.68:                               ;   in Loop: Header=BB1_65 Depth=1
	global_load_b32 v24, v13, s[12:13]
	s_wait_loadcnt 0x0
	v_div_scale_f32 v25, null, v24, v24, v1
	s_delay_alu instid0(VALU_DEP_1) | instskip(SKIP_1) | instid1(TRANS32_DEP_1)
	v_rcp_f32_e32 v26, v25
	v_nop
	v_fma_f32 v27, -v25, v26, 1.0
	s_delay_alu instid0(VALU_DEP_1) | instskip(SKIP_1) | instid1(VALU_DEP_1)
	v_fmac_f32_e32 v26, v27, v26
	v_div_scale_f32 v27, vcc_lo, v1, v24, v1
	v_mul_f32_e32 v28, v27, v26
	s_delay_alu instid0(VALU_DEP_1) | instskip(NEXT) | instid1(VALU_DEP_1)
	v_fma_f32 v29, -v25, v28, v27
	v_fmac_f32_e32 v28, v29, v26
	s_delay_alu instid0(VALU_DEP_1) | instskip(NEXT) | instid1(VALU_DEP_1)
	v_fma_f32 v25, -v25, v28, v27
	v_div_fmas_f32 v25, v25, v26, v28
	s_delay_alu instid0(VALU_DEP_1)
	v_div_fixup_f32 v1, v25, v24, v1
.LBB1_69:                               ;   in Loop: Header=BB1_65 Depth=1
	s_and_not1_b32 vcc_lo, exec_lo, s6
	;; [unrolled: 23-line block ×3, first 2 shown]
	s_cbranch_vccnz .LBB1_73
; %bb.72:                               ;   in Loop: Header=BB1_65 Depth=1
	global_load_b32 v24, v13, s[12:13]
	s_wait_loadcnt 0x0
	v_div_scale_f32 v25, null, v24, v24, v3
	s_delay_alu instid0(VALU_DEP_1) | instskip(SKIP_1) | instid1(TRANS32_DEP_1)
	v_rcp_f32_e32 v26, v25
	v_nop
	v_fma_f32 v27, -v25, v26, 1.0
	s_delay_alu instid0(VALU_DEP_1) | instskip(SKIP_1) | instid1(VALU_DEP_1)
	v_fmac_f32_e32 v26, v27, v26
	v_div_scale_f32 v27, vcc_lo, v3, v24, v3
	v_mul_f32_e32 v28, v27, v26
	s_delay_alu instid0(VALU_DEP_1) | instskip(NEXT) | instid1(VALU_DEP_1)
	v_fma_f32 v29, -v25, v28, v27
	v_fmac_f32_e32 v28, v29, v26
	s_delay_alu instid0(VALU_DEP_1) | instskip(NEXT) | instid1(VALU_DEP_1)
	v_fma_f32 v25, -v25, v28, v27
	v_div_fmas_f32 v25, v25, v26, v28
	s_delay_alu instid0(VALU_DEP_1)
	v_div_fixup_f32 v3, v25, v24, v3
.LBB1_73:                               ;   in Loop: Header=BB1_65 Depth=1
	s_wait_loadcnt 0x1
	s_delay_alu instid0(VALU_DEP_1) | instskip(NEXT) | instid1(VALU_DEP_2)
	v_dual_cndmask_b32 v24, v2, -v2, s28 :: v_dual_cndmask_b32 v25, v1, -v1, s28
	v_dual_cndmask_b32 v26, v0, -v0, s28 :: v_dual_cndmask_b32 v27, v3, -v3, s28
	s_and_not1_b32 vcc_lo, exec_lo, s6
	s_delay_alu instid0(VALU_DEP_2) | instskip(NEXT) | instid1(VALU_DEP_2)
	v_dual_fma_f32 v28, v6, v35, v24 :: v_dual_fma_f32 v29, v5, v35, v25
	v_dual_fma_f32 v30, v4, v35, v26 :: v_dual_fma_f32 v31, v7, v35, v27
	s_delay_alu instid0(VALU_DEP_2) | instskip(NEXT) | instid1(VALU_DEP_2)
	v_dual_cndmask_b32 v24, v24, v28, s0 :: v_dual_cndmask_b32 v25, v25, v29, s0
	v_dual_cndmask_b32 v26, v26, v30, s0 :: v_dual_cndmask_b32 v27, v27, v31, s0
	s_delay_alu instid0(VALU_DEP_2) | instskip(NEXT) | instid1(VALU_DEP_2)
	v_dual_mul_f32 v28, v22, v24 :: v_dual_mul_f32 v29, v22, v25
	v_dual_mul_f32 v30, v22, v26 :: v_dual_mul_f32 v31, v22, v27
	s_wait_loadcnt 0x0
	s_delay_alu instid0(VALU_DEP_2) | instskip(NEXT) | instid1(VALU_DEP_2)
	v_dual_fmac_f32 v28, v10, v36 :: v_dual_fmac_f32 v29, v9, v36
	v_dual_fmac_f32 v30, v8, v36 :: v_dual_fmac_f32 v31, v11, v36
	s_delay_alu instid0(VALU_DEP_2) | instskip(NEXT) | instid1(VALU_DEP_2)
	v_dual_cndmask_b32 v10, v28, v24, s3 :: v_dual_cndmask_b32 v9, v29, v25, s3
	v_dual_cndmask_b32 v8, v30, v26, s3 :: v_dual_cndmask_b32 v11, v31, v27, s3
	s_delay_alu instid0(VALU_DEP_2) | instskip(NEXT) | instid1(VALU_DEP_2)
	v_dual_fmac_f32 v24, v10, v36 :: v_dual_fmac_f32 v25, v9, v36
	v_dual_fmac_f32 v26, v8, v36 :: v_dual_fmac_f32 v27, v11, v36
	s_delay_alu instid0(VALU_DEP_2) | instskip(NEXT) | instid1(VALU_DEP_2)
	v_dual_cndmask_b32 v24, v10, v24, s2 :: v_dual_cndmask_b32 v25, v9, v25, s2
	v_dual_cndmask_b32 v26, v8, v26, s2 :: v_dual_cndmask_b32 v27, v11, v27, s2
	s_delay_alu instid0(VALU_DEP_2) | instskip(NEXT) | instid1(VALU_DEP_2)
	v_dual_fma_f32 v6, -v34, v24, v6 :: v_dual_fma_f32 v5, -v34, v25, v5
	v_dual_fma_f32 v4, -v34, v26, v4 :: v_dual_fma_f32 v7, -v34, v27, v7
	global_store_b128 v[20:21], v[4:7], off
	s_cbranch_vccnz .LBB1_64
; %bb.74:                               ;   in Loop: Header=BB1_65 Depth=1
	global_store_b128 v[18:19], v[0:3], off
	s_branch .LBB1_64
.LBB1_75:
	s_endpgm
.LBB1_76:
                                        ; implicit-def: $sgpr2
	s_load_b32 s18, s[16:17], 0x740
	v_mov_b32_e32 v34, s2
	s_branch .LBB1_5
	.section	.rodata,"a",@progbits
	.p2align	6, 0x0
	.amdhsa_kernel _ZN2at6native12_GLOBAL__N_125multi_tensor_apply_kernelINS1_18TensorListMetadataILi3EEENS1_19FusedSgdMathFunctorIfLi3EEEJddPfddbbbS7_S7_EEEvT_T0_DpT1_
		.amdhsa_group_segment_fixed_size 0
		.amdhsa_private_segment_fixed_size 0
		.amdhsa_kernarg_size 3472
		.amdhsa_user_sgpr_count 2
		.amdhsa_user_sgpr_dispatch_ptr 0
		.amdhsa_user_sgpr_queue_ptr 0
		.amdhsa_user_sgpr_kernarg_segment_ptr 1
		.amdhsa_user_sgpr_dispatch_id 0
		.amdhsa_user_sgpr_kernarg_preload_length 0
		.amdhsa_user_sgpr_kernarg_preload_offset 0
		.amdhsa_user_sgpr_private_segment_size 0
		.amdhsa_wavefront_size32 1
		.amdhsa_uses_dynamic_stack 0
		.amdhsa_enable_private_segment 0
		.amdhsa_system_sgpr_workgroup_id_x 1
		.amdhsa_system_sgpr_workgroup_id_y 0
		.amdhsa_system_sgpr_workgroup_id_z 0
		.amdhsa_system_sgpr_workgroup_info 0
		.amdhsa_system_vgpr_workitem_id 0
		.amdhsa_next_free_vgpr 57
		.amdhsa_next_free_sgpr 38
		.amdhsa_named_barrier_count 0
		.amdhsa_reserve_vcc 1
		.amdhsa_float_round_mode_32 0
		.amdhsa_float_round_mode_16_64 0
		.amdhsa_float_denorm_mode_32 3
		.amdhsa_float_denorm_mode_16_64 3
		.amdhsa_fp16_overflow 0
		.amdhsa_memory_ordered 1
		.amdhsa_forward_progress 1
		.amdhsa_inst_pref_size 28
		.amdhsa_round_robin_scheduling 0
		.amdhsa_exception_fp_ieee_invalid_op 0
		.amdhsa_exception_fp_denorm_src 0
		.amdhsa_exception_fp_ieee_div_zero 0
		.amdhsa_exception_fp_ieee_overflow 0
		.amdhsa_exception_fp_ieee_underflow 0
		.amdhsa_exception_fp_ieee_inexact 0
		.amdhsa_exception_int_div_zero 0
	.end_amdhsa_kernel
	.section	.text._ZN2at6native12_GLOBAL__N_125multi_tensor_apply_kernelINS1_18TensorListMetadataILi3EEENS1_19FusedSgdMathFunctorIfLi3EEEJddPfddbbbS7_S7_EEEvT_T0_DpT1_,"axG",@progbits,_ZN2at6native12_GLOBAL__N_125multi_tensor_apply_kernelINS1_18TensorListMetadataILi3EEENS1_19FusedSgdMathFunctorIfLi3EEEJddPfddbbbS7_S7_EEEvT_T0_DpT1_,comdat
.Lfunc_end1:
	.size	_ZN2at6native12_GLOBAL__N_125multi_tensor_apply_kernelINS1_18TensorListMetadataILi3EEENS1_19FusedSgdMathFunctorIfLi3EEEJddPfddbbbS7_S7_EEEvT_T0_DpT1_, .Lfunc_end1-_ZN2at6native12_GLOBAL__N_125multi_tensor_apply_kernelINS1_18TensorListMetadataILi3EEENS1_19FusedSgdMathFunctorIfLi3EEEJddPfddbbbS7_S7_EEEvT_T0_DpT1_
                                        ; -- End function
	.set _ZN2at6native12_GLOBAL__N_125multi_tensor_apply_kernelINS1_18TensorListMetadataILi3EEENS1_19FusedSgdMathFunctorIfLi3EEEJddPfddbbbS7_S7_EEEvT_T0_DpT1_.num_vgpr, 57
	.set _ZN2at6native12_GLOBAL__N_125multi_tensor_apply_kernelINS1_18TensorListMetadataILi3EEENS1_19FusedSgdMathFunctorIfLi3EEEJddPfddbbbS7_S7_EEEvT_T0_DpT1_.num_agpr, 0
	.set _ZN2at6native12_GLOBAL__N_125multi_tensor_apply_kernelINS1_18TensorListMetadataILi3EEENS1_19FusedSgdMathFunctorIfLi3EEEJddPfddbbbS7_S7_EEEvT_T0_DpT1_.numbered_sgpr, 38
	.set _ZN2at6native12_GLOBAL__N_125multi_tensor_apply_kernelINS1_18TensorListMetadataILi3EEENS1_19FusedSgdMathFunctorIfLi3EEEJddPfddbbbS7_S7_EEEvT_T0_DpT1_.num_named_barrier, 0
	.set _ZN2at6native12_GLOBAL__N_125multi_tensor_apply_kernelINS1_18TensorListMetadataILi3EEENS1_19FusedSgdMathFunctorIfLi3EEEJddPfddbbbS7_S7_EEEvT_T0_DpT1_.private_seg_size, 0
	.set _ZN2at6native12_GLOBAL__N_125multi_tensor_apply_kernelINS1_18TensorListMetadataILi3EEENS1_19FusedSgdMathFunctorIfLi3EEEJddPfddbbbS7_S7_EEEvT_T0_DpT1_.uses_vcc, 1
	.set _ZN2at6native12_GLOBAL__N_125multi_tensor_apply_kernelINS1_18TensorListMetadataILi3EEENS1_19FusedSgdMathFunctorIfLi3EEEJddPfddbbbS7_S7_EEEvT_T0_DpT1_.uses_flat_scratch, 0
	.set _ZN2at6native12_GLOBAL__N_125multi_tensor_apply_kernelINS1_18TensorListMetadataILi3EEENS1_19FusedSgdMathFunctorIfLi3EEEJddPfddbbbS7_S7_EEEvT_T0_DpT1_.has_dyn_sized_stack, 0
	.set _ZN2at6native12_GLOBAL__N_125multi_tensor_apply_kernelINS1_18TensorListMetadataILi3EEENS1_19FusedSgdMathFunctorIfLi3EEEJddPfddbbbS7_S7_EEEvT_T0_DpT1_.has_recursion, 0
	.set _ZN2at6native12_GLOBAL__N_125multi_tensor_apply_kernelINS1_18TensorListMetadataILi3EEENS1_19FusedSgdMathFunctorIfLi3EEEJddPfddbbbS7_S7_EEEvT_T0_DpT1_.has_indirect_call, 0
	.section	.AMDGPU.csdata,"",@progbits
; Kernel info:
; codeLenInByte = 3484
; TotalNumSgprs: 40
; NumVgprs: 57
; ScratchSize: 0
; MemoryBound: 0
; FloatMode: 240
; IeeeMode: 1
; LDSByteSize: 0 bytes/workgroup (compile time only)
; SGPRBlocks: 0
; VGPRBlocks: 3
; NumSGPRsForWavesPerEU: 40
; NumVGPRsForWavesPerEU: 57
; NamedBarCnt: 0
; Occupancy: 16
; WaveLimiterHint : 0
; COMPUTE_PGM_RSRC2:SCRATCH_EN: 0
; COMPUTE_PGM_RSRC2:USER_SGPR: 2
; COMPUTE_PGM_RSRC2:TRAP_HANDLER: 0
; COMPUTE_PGM_RSRC2:TGID_X_EN: 1
; COMPUTE_PGM_RSRC2:TGID_Y_EN: 0
; COMPUTE_PGM_RSRC2:TGID_Z_EN: 0
; COMPUTE_PGM_RSRC2:TIDIG_COMP_CNT: 0
	.section	.text._ZN2at6native12_GLOBAL__N_125multi_tensor_apply_kernelINS1_18TensorListMetadataILi3EEENS1_19FusedSgdMathFunctorIN3c104HalfELi3EEEJddPfddbbbS9_S9_EEEvT_T0_DpT1_,"axG",@progbits,_ZN2at6native12_GLOBAL__N_125multi_tensor_apply_kernelINS1_18TensorListMetadataILi3EEENS1_19FusedSgdMathFunctorIN3c104HalfELi3EEEJddPfddbbbS9_S9_EEEvT_T0_DpT1_,comdat
	.globl	_ZN2at6native12_GLOBAL__N_125multi_tensor_apply_kernelINS1_18TensorListMetadataILi3EEENS1_19FusedSgdMathFunctorIN3c104HalfELi3EEEJddPfddbbbS9_S9_EEEvT_T0_DpT1_ ; -- Begin function _ZN2at6native12_GLOBAL__N_125multi_tensor_apply_kernelINS1_18TensorListMetadataILi3EEENS1_19FusedSgdMathFunctorIN3c104HalfELi3EEEJddPfddbbbS9_S9_EEEvT_T0_DpT1_
	.p2align	8
	.type	_ZN2at6native12_GLOBAL__N_125multi_tensor_apply_kernelINS1_18TensorListMetadataILi3EEENS1_19FusedSgdMathFunctorIN3c104HalfELi3EEEJddPfddbbbS9_S9_EEEvT_T0_DpT1_,@function
_ZN2at6native12_GLOBAL__N_125multi_tensor_apply_kernelINS1_18TensorListMetadataILi3EEENS1_19FusedSgdMathFunctorIN3c104HalfELi3EEEJddPfddbbbS9_S9_EEEvT_T0_DpT1_: ; @_ZN2at6native12_GLOBAL__N_125multi_tensor_apply_kernelINS1_18TensorListMetadataILi3EEENS1_19FusedSgdMathFunctorIN3c104HalfELi3EEEJddPfddbbbS9_S9_EEEvT_T0_DpT1_
; %bb.0:
	s_load_b128 s[12:15], s[0:1], 0xc80
	s_wait_kmcnt 0x0
	s_cmp_eq_u64 s[14:15], 0
	s_cselect_b32 s2, -1, 0
	s_delay_alu instid0(SALU_CYCLE_1)
	s_and_b32 vcc_lo, exec_lo, s2
	s_cbranch_vccnz .LBB2_2
; %bb.1:
	s_load_b32 s2, s[14:15], 0x0
	s_wait_kmcnt 0x0
	s_cmp_neq_f32 s2, 1.0
	s_cselect_b32 s2, -1, 0
.LBB2_2:
	s_delay_alu instid0(SALU_CYCLE_1)
	s_and_not1_b32 vcc_lo, exec_lo, s2
	s_cbranch_vccnz .LBB2_75
; %bb.3:
	s_bfe_u32 s2, ttmp6, 0x4000c
	s_and_b32 s3, ttmp6, 15
	s_add_co_i32 s2, s2, 1
	s_getreg_b32 s4, hwreg(HW_REG_IB_STS2, 6, 4)
	s_mul_i32 s2, ttmp9, s2
	s_delay_alu instid0(SALU_CYCLE_1)
	s_add_co_i32 s3, s3, s2
	s_cmp_eq_u32 s4, 0
	s_cselect_b32 s2, ttmp9, s3
	s_mov_b32 s3, 0
	v_mov_b32_e32 v1, s2
	s_add_nc_u64 s[16:17], s[0:1], s[2:3]
	s_mul_u64 s[20:21], s[2:3], 3
	s_delay_alu instid0(SALU_CYCLE_1)
	s_add_nc_u64 s[16:17], s[16:17], s[20:21]
	global_load_u8 v1, v1, s[0:1] offset:1536
	s_clause 0x1
	s_load_b256 s[4:11], s[0:1], 0xc50
	s_load_b64 s[14:15], s[0:1], 0xc70
	s_wait_kmcnt 0x0
	s_cmp_eq_u64 s[8:9], 0
	s_wait_loadcnt 0x0
	v_readfirstlane_b32 s19, v1
	s_cbranch_scc1 .LBB2_76
; %bb.4:
	s_load_b32 s2, s[8:9], 0x0
	s_load_b32 s18, s[16:17], 0x740
	s_wait_kmcnt 0x0
	v_mov_b32_e32 v34, s2
	s_and_not1_b32 vcc_lo, exec_lo, s3
	s_cbranch_vccnz .LBB2_6
.LBB2_5:
	v_cvt_f32_f64_e32 v34, s[10:11]
.LBB2_6:
	s_load_b32 s3, s[0:1], 0xc78
	v_cvt_f32_f64_e32 v35, s[4:5]
	v_cvt_f32_f64_e32 v36, s[6:7]
	;; [unrolled: 1-line block ×3, first 2 shown]
	s_mov_b32 s23, 0
	s_delay_alu instid0(SALU_CYCLE_1)
	s_mov_b32 s27, s23
	s_wait_kmcnt 0x0
	s_bitcmp1_b32 s3, 0
	s_cselect_b32 s2, -1, 0
	s_bitcmp1_b32 s3, 8
	s_cselect_b32 s28, -1, 0
	;; [unrolled: 2-line block ×3, first 2 shown]
	s_and_b32 s10, s19, 0xff
	s_clause 0x3
	s_load_b64 s[4:5], s[0:1], s10 offset:0x0 scale_offset
	s_load_b64 s[8:9], s[0:1], s10 offset:0x180 scale_offset
	;; [unrolled: 1-line block ×4, first 2 shown]
	s_ashr_i32 s19, s18, 31
	s_delay_alu instid0(SALU_CYCLE_1)
	s_lshl_b64 s[20:21], s[18:19], 17
	s_lshl_b64 s[18:19], s[18:19], 16
	s_wait_kmcnt 0x0
	s_add_nc_u64 s[10:11], s[4:5], s[20:21]
	s_add_nc_u64 s[16:17], s[8:9], s[20:21]
	;; [unrolled: 1-line block ×3, first 2 shown]
	s_and_b64 s[30:31], s[6:7], 3
	s_and_b32 s26, s14, 7
	s_and_b32 s22, s16, 7
	s_or_b64 s[26:27], s[30:31], s[26:27]
	s_and_b64 s[30:31], s[10:11], 7
	s_or_b64 s[22:23], s[26:27], s[22:23]
	s_sub_nc_u64 s[18:19], s[6:7], s[18:19]
	s_or_b64 s[22:23], s[22:23], s[30:31]
	s_mov_b32 s6, -1
	s_cmp_eq_u64 s[22:23], 0
	s_cbranch_scc1 .LBB2_61
; %bb.7:
	v_cmp_lt_i64_e64 s6, s[18:19], 1
	s_and_b32 vcc_lo, exec_lo, s6
	s_cbranch_vccnz .LBB2_60
; %bb.8:
	s_load_b32 s6, s[0:1], 0xc9c
	v_min_i64 v[2:3], 0x10000, s[18:19]
	v_dual_mov_b32 v1, 0 :: v_dual_lshlrev_b32 v12, 1, v0
	s_mov_b32 s27, 0
	v_sub_f32_e32 v38, 1.0, v37
	s_mov_b32 s23, s27
	s_delay_alu instid0(VALU_DEP_2) | instskip(SKIP_2) | instid1(VALU_DEP_1)
	v_dual_mov_b32 v13, v1 :: v_dual_mov_b32 v33, v1
	s_mov_b32 s7, s27
	s_mov_b32 s31, s27
	v_add_nc_u64_e32 v[4:5], s[4:5], v[12:13]
	v_add_nc_u64_e32 v[6:7], s[8:9], v[12:13]
	;; [unrolled: 1-line block ×3, first 2 shown]
	s_wait_kmcnt 0x0
	s_and_b32 s26, s6, 0xffff
	s_delay_alu instid0(SALU_CYCLE_1)
	s_lshl_b32 s6, s26, 1
	v_add_nc_u64_e32 v[10:11], s[26:27], v[0:1]
	v_mad_nc_u64_u32 v[20:21], s26, 6, v[12:13]
	s_cmp_lg_u64 s[12:13], 0
	s_mul_i32 s30, s26, 3
	s_cselect_b32 s29, -1, 0
	s_lshl_b32 s22, s26, 2
	v_add_nc_u64_e32 v[14:15], s[6:7], v[0:1]
	v_add_nc_u64_e32 v[26:27], s[22:23], v[12:13]
	v_lshlrev_b32_e32 v32, 1, v10
	v_add_nc_u64_e32 v[12:13], s[30:31], v[0:1]
	s_lshl_b32 s26, s26, 3
	v_add_nc_u64_e32 v[16:17], s[4:5], v[20:21]
	v_add_nc_u64_e32 v[18:19], s[8:9], v[20:21]
	;; [unrolled: 1-line block ×9, first 2 shown]
	v_cmp_neq_f32_e64 s4, 0, v35
	s_mov_b64 s[24:25], 0
	s_branch .LBB2_10
.LBB2_9:                                ;   in Loop: Header=BB2_10 Depth=1
	s_wait_xcnt 0x0
	s_or_b32 exec_lo, exec_lo, s5
	s_add_nc_u64 s[24:25], s[24:25], s[22:23]
	v_add_nc_u64_e32 v[4:5], s[26:27], v[4:5]
	v_cmp_lt_i64_e32 vcc_lo, s[24:25], v[2:3]
	v_add_nc_u64_e32 v[6:7], s[26:27], v[6:7]
	v_add_nc_u64_e32 v[8:9], s[26:27], v[8:9]
	v_add_nc_u64_e32 v[16:17], s[26:27], v[16:17]
	v_add_nc_u64_e32 v[18:19], s[26:27], v[18:19]
	v_add_nc_u64_e32 v[20:21], s[26:27], v[20:21]
	v_add_nc_u64_e32 v[22:23], s[26:27], v[22:23]
	v_add_nc_u64_e32 v[24:25], s[26:27], v[24:25]
	v_add_nc_u64_e32 v[26:27], s[26:27], v[26:27]
	v_add_nc_u64_e32 v[28:29], s[26:27], v[28:29]
	v_add_nc_u64_e32 v[30:31], s[26:27], v[30:31]
	v_add_nc_u64_e32 v[32:33], s[26:27], v[32:33]
	s_cbranch_vccz .LBB2_60
.LBB2_10:                               ; =>This Inner Loop Header: Depth=1
	v_add_nc_u64_e32 v[40:41], s[24:25], v[0:1]
	v_dual_mov_b32 v43, 0 :: v_dual_mov_b32 v39, 0
	v_mov_b32_e32 v42, 0
	s_delay_alu instid0(VALU_DEP_3)
	v_cmp_lt_i64_e64 s5, v[40:41], v[2:3]
	s_and_saveexec_b32 s6, s5
	s_cbranch_execz .LBB2_12
; %bb.11:                               ;   in Loop: Header=BB2_10 Depth=1
	v_add_nc_u64_e32 v[40:41], s[20:21], v[4:5]
	v_add_nc_u64_e32 v[44:45], s[20:21], v[6:7]
	global_load_u16 v42, v[40:41], off
	global_load_u16 v39, v[44:45], off
	s_wait_loadcnt 0x1
	v_cvt_f32_f16_e32 v42, v42
.LBB2_12:                               ;   in Loop: Header=BB2_10 Depth=1
	s_wait_xcnt 0x0
	s_or_b32 exec_lo, exec_lo, s6
	s_and_saveexec_b32 s6, s5
	s_cbranch_execz .LBB2_14
; %bb.13:                               ;   in Loop: Header=BB2_10 Depth=1
	v_add_nc_u64_e32 v[40:41], s[20:21], v[8:9]
	global_load_u16 v40, v[40:41], off
	s_wait_loadcnt 0x0
	v_cvt_f32_f16_e32 v43, v40
.LBB2_14:                               ;   in Loop: Header=BB2_10 Depth=1
	s_wait_xcnt 0x0
	s_or_b32 exec_lo, exec_lo, s6
	v_add_nc_u64_e32 v[40:41], s[24:25], v[10:11]
	v_dual_mov_b32 v44, 0 :: v_dual_mov_b32 v46, 0
	s_delay_alu instid0(VALU_DEP_2)
	v_cmp_lt_i64_e64 s6, v[40:41], v[2:3]
	v_mov_b32_e32 v40, 0
	s_and_saveexec_b32 s7, s6
	s_cbranch_execz .LBB2_16
; %bb.15:                               ;   in Loop: Header=BB2_10 Depth=1
	v_add_nc_u64_e32 v[44:45], s[20:21], v[28:29]
	v_add_nc_u64_e32 v[48:49], s[20:21], v[30:31]
	global_load_u16 v41, v[44:45], off
	global_load_u16 v40, v[48:49], off
	s_wait_loadcnt 0x1
	s_wait_xcnt 0x1
	v_cvt_f32_f16_e32 v44, v41
.LBB2_16:                               ;   in Loop: Header=BB2_10 Depth=1
	s_wait_xcnt 0x0
	s_or_b32 exec_lo, exec_lo, s7
	s_and_saveexec_b32 s7, s6
	s_cbranch_execz .LBB2_18
; %bb.17:                               ;   in Loop: Header=BB2_10 Depth=1
	v_add_nc_u64_e32 v[46:47], s[20:21], v[32:33]
	global_load_u16 v41, v[46:47], off
	s_wait_loadcnt 0x0
	s_wait_xcnt 0x0
	v_cvt_f32_f16_e32 v46, v41
.LBB2_18:                               ;   in Loop: Header=BB2_10 Depth=1
	s_or_b32 exec_lo, exec_lo, s7
	v_add_nc_u64_e32 v[48:49], s[24:25], v[14:15]
	v_dual_mov_b32 v47, 0 :: v_dual_mov_b32 v41, 0
	s_delay_alu instid0(VALU_DEP_2)
	v_cmp_lt_i64_e64 s7, v[48:49], v[2:3]
	v_mov_b32_e32 v48, 0
	s_and_saveexec_b32 s8, s7
	s_cbranch_execz .LBB2_20
; %bb.19:                               ;   in Loop: Header=BB2_10 Depth=1
	v_add_nc_u64_e32 v[50:51], s[20:21], v[22:23]
	v_add_nc_u64_e32 v[52:53], s[20:21], v[24:25]
	global_load_u16 v45, v[50:51], off
	global_load_u16 v41, v[52:53], off
	s_wait_loadcnt 0x1
	v_cvt_f32_f16_e32 v47, v45
.LBB2_20:                               ;   in Loop: Header=BB2_10 Depth=1
	s_wait_xcnt 0x0
	s_or_b32 exec_lo, exec_lo, s8
	s_and_saveexec_b32 s8, s7
	s_cbranch_execz .LBB2_22
; %bb.21:                               ;   in Loop: Header=BB2_10 Depth=1
	v_add_nc_u64_e32 v[48:49], s[20:21], v[26:27]
	global_load_u16 v45, v[48:49], off
	s_wait_loadcnt 0x0
	s_wait_xcnt 0x0
	v_cvt_f32_f16_e32 v48, v45
.LBB2_22:                               ;   in Loop: Header=BB2_10 Depth=1
	s_or_b32 exec_lo, exec_lo, s8
	v_add_nc_u64_e32 v[50:51], s[24:25], v[12:13]
	v_dual_mov_b32 v49, 0 :: v_dual_mov_b32 v45, 0
	s_delay_alu instid0(VALU_DEP_2)
	v_cmp_lt_i64_e64 s8, v[50:51], v[2:3]
	v_mov_b32_e32 v50, 0
	s_and_saveexec_b32 s9, s8
	s_cbranch_execnz .LBB2_51
; %bb.23:                               ;   in Loop: Header=BB2_10 Depth=1
	s_or_b32 exec_lo, exec_lo, s9
	s_and_saveexec_b32 s9, s8
	s_cbranch_execnz .LBB2_52
.LBB2_24:                               ;   in Loop: Header=BB2_10 Depth=1
	s_or_b32 exec_lo, exec_lo, s9
	s_wait_loadcnt 0x0
	v_cvt_f32_f16_e32 v51, v39
	s_and_not1_b32 vcc_lo, exec_lo, s29
	s_cbranch_vccnz .LBB2_26
.LBB2_25:                               ;   in Loop: Header=BB2_10 Depth=1
	s_load_b32 s9, s[12:13], 0x0
	s_wait_kmcnt 0x0
	v_div_scale_f32 v39, null, s9, s9, v51
	s_delay_alu instid0(VALU_DEP_1) | instskip(SKIP_1) | instid1(TRANS32_DEP_1)
	v_rcp_f32_e32 v52, v39
	v_nop
	v_fma_f32 v53, -v39, v52, 1.0
	s_delay_alu instid0(VALU_DEP_1) | instskip(SKIP_1) | instid1(VALU_DEP_1)
	v_fmac_f32_e32 v52, v53, v52
	v_div_scale_f32 v53, vcc_lo, v51, s9, v51
	v_mul_f32_e32 v54, v53, v52
	s_delay_alu instid0(VALU_DEP_1) | instskip(NEXT) | instid1(VALU_DEP_1)
	v_fma_f32 v55, -v39, v54, v53
	v_fmac_f32_e32 v54, v55, v52
	s_delay_alu instid0(VALU_DEP_1) | instskip(NEXT) | instid1(VALU_DEP_1)
	v_fma_f32 v39, -v39, v54, v53
	v_div_fmas_f32 v39, v39, v52, v54
	s_delay_alu instid0(VALU_DEP_1) | instskip(NEXT) | instid1(VALU_DEP_1)
	v_div_fixup_f32 v51, v39, s9, v51
	v_cvt_f16_f32_e32 v39, v51
.LBB2_26:                               ;   in Loop: Header=BB2_10 Depth=1
	v_cvt_f32_f16_e32 v52, v40
	s_and_not1_b32 vcc_lo, exec_lo, s29
	s_cbranch_vccnz .LBB2_28
; %bb.27:                               ;   in Loop: Header=BB2_10 Depth=1
	s_load_b32 s9, s[12:13], 0x0
	s_wait_kmcnt 0x0
	v_div_scale_f32 v40, null, s9, s9, v52
	s_delay_alu instid0(VALU_DEP_1) | instskip(SKIP_1) | instid1(TRANS32_DEP_1)
	v_rcp_f32_e32 v53, v40
	v_nop
	v_fma_f32 v54, -v40, v53, 1.0
	s_delay_alu instid0(VALU_DEP_1) | instskip(SKIP_1) | instid1(VALU_DEP_1)
	v_fmac_f32_e32 v53, v54, v53
	v_div_scale_f32 v54, vcc_lo, v52, s9, v52
	v_mul_f32_e32 v55, v54, v53
	s_delay_alu instid0(VALU_DEP_1) | instskip(NEXT) | instid1(VALU_DEP_1)
	v_fma_f32 v56, -v40, v55, v54
	v_fmac_f32_e32 v55, v56, v53
	s_delay_alu instid0(VALU_DEP_1) | instskip(NEXT) | instid1(VALU_DEP_1)
	v_fma_f32 v40, -v40, v55, v54
	v_div_fmas_f32 v40, v40, v53, v55
	s_delay_alu instid0(VALU_DEP_1) | instskip(NEXT) | instid1(VALU_DEP_1)
	v_div_fixup_f32 v52, v40, s9, v52
	v_cvt_f16_f32_e32 v40, v52
.LBB2_28:                               ;   in Loop: Header=BB2_10 Depth=1
	v_cvt_f32_f16_e32 v53, v41
	s_and_not1_b32 vcc_lo, exec_lo, s29
	s_cbranch_vccnz .LBB2_30
; %bb.29:                               ;   in Loop: Header=BB2_10 Depth=1
	s_load_b32 s9, s[12:13], 0x0
	s_wait_kmcnt 0x0
	v_div_scale_f32 v41, null, s9, s9, v53
	s_delay_alu instid0(VALU_DEP_1) | instskip(SKIP_1) | instid1(TRANS32_DEP_1)
	v_rcp_f32_e32 v54, v41
	v_nop
	v_fma_f32 v55, -v41, v54, 1.0
	s_delay_alu instid0(VALU_DEP_1) | instskip(SKIP_1) | instid1(VALU_DEP_1)
	v_fmac_f32_e32 v54, v55, v54
	v_div_scale_f32 v55, vcc_lo, v53, s9, v53
	v_mul_f32_e32 v56, v55, v54
	s_delay_alu instid0(VALU_DEP_1) | instskip(NEXT) | instid1(VALU_DEP_1)
	v_fma_f32 v57, -v41, v56, v55
	v_fmac_f32_e32 v56, v57, v54
	s_delay_alu instid0(VALU_DEP_1) | instskip(NEXT) | instid1(VALU_DEP_1)
	v_fma_f32 v41, -v41, v56, v55
	v_div_fmas_f32 v41, v41, v54, v56
	s_delay_alu instid0(VALU_DEP_1) | instskip(NEXT) | instid1(VALU_DEP_1)
	v_div_fixup_f32 v53, v41, s9, v53
	v_cvt_f16_f32_e32 v41, v53
.LBB2_30:                               ;   in Loop: Header=BB2_10 Depth=1
	;; [unrolled: 25-line block ×3, first 2 shown]
	v_cndmask_b32_e64 v51, v51, -v51, s28
	s_delay_alu instid0(VALU_DEP_1) | instskip(NEXT) | instid1(VALU_DEP_1)
	v_fma_f32 v55, v42, v35, v51
	v_cndmask_b32_e64 v51, v51, v55, s4
	s_delay_alu instid0(VALU_DEP_1) | instskip(NEXT) | instid1(VALU_DEP_1)
	v_mul_f32_e32 v55, v38, v51
	v_fmac_f32_e32 v55, v43, v36
	s_delay_alu instid0(VALU_DEP_1)
	v_cndmask_b32_e64 v43, v55, v51, s3
	s_and_saveexec_b32 s9, s5
	s_cbranch_execz .LBB2_34
; %bb.33:                               ;   in Loop: Header=BB2_10 Depth=1
	s_delay_alu instid0(VALU_DEP_1) | instskip(SKIP_1) | instid1(VALU_DEP_2)
	v_fmac_f32_e32 v51, v43, v36
	v_add_nc_u64_e32 v[56:57], s[20:21], v[4:5]
	v_cndmask_b32_e64 v51, v43, v51, s2
	s_delay_alu instid0(VALU_DEP_1)
	v_fma_mixlo_f16 v42, -v34, v51, v42
	global_store_b16 v[56:57], v42, off
.LBB2_34:                               ;   in Loop: Header=BB2_10 Depth=1
	s_wait_xcnt 0x0
	s_or_b32 exec_lo, exec_lo, s9
	v_cndmask_b32_e64 v42, v52, -v52, s28
	s_delay_alu instid0(VALU_DEP_1) | instskip(NEXT) | instid1(VALU_DEP_1)
	v_fma_f32 v51, v44, v35, v42
	v_cndmask_b32_e64 v51, v42, v51, s4
	s_delay_alu instid0(VALU_DEP_1) | instskip(NEXT) | instid1(VALU_DEP_1)
	v_mul_f32_e32 v42, v38, v51
	v_fmac_f32_e32 v42, v46, v36
	s_delay_alu instid0(VALU_DEP_1)
	v_cndmask_b32_e64 v42, v42, v51, s3
	s_and_saveexec_b32 s9, s6
	s_cbranch_execz .LBB2_36
; %bb.35:                               ;   in Loop: Header=BB2_10 Depth=1
	s_delay_alu instid0(VALU_DEP_1) | instskip(SKIP_1) | instid1(VALU_DEP_2)
	v_fmac_f32_e32 v51, v42, v36
	v_add_nc_u64_e32 v[56:57], s[20:21], v[28:29]
	v_cndmask_b32_e64 v46, v42, v51, s2
	s_delay_alu instid0(VALU_DEP_1)
	v_fma_mixlo_f16 v44, -v34, v46, v44
	global_store_b16 v[56:57], v44, off
.LBB2_36:                               ;   in Loop: Header=BB2_10 Depth=1
	s_wait_xcnt 0x0
	s_or_b32 exec_lo, exec_lo, s9
	;; [unrolled: 22-line block ×4, first 2 shown]
	s_delay_alu instid0(SALU_CYCLE_1)
	s_and_not1_b32 vcc_lo, exec_lo, s29
	s_cbranch_vccnz .LBB2_47
; %bb.41:                               ;   in Loop: Header=BB2_10 Depth=1
	s_and_saveexec_b32 s9, s5
	s_cbranch_execnz .LBB2_57
; %bb.42:                               ;   in Loop: Header=BB2_10 Depth=1
	s_or_b32 exec_lo, exec_lo, s9
	s_and_saveexec_b32 s9, s6
	s_cbranch_execnz .LBB2_58
.LBB2_43:                               ;   in Loop: Header=BB2_10 Depth=1
	s_or_b32 exec_lo, exec_lo, s9
	s_and_saveexec_b32 s9, s7
	s_cbranch_execnz .LBB2_59
.LBB2_44:                               ;   in Loop: Header=BB2_10 Depth=1
	s_or_b32 exec_lo, exec_lo, s9
	s_and_saveexec_b32 s9, s8
	s_cbranch_execz .LBB2_46
.LBB2_45:                               ;   in Loop: Header=BB2_10 Depth=1
	v_add_nc_u64_e32 v[40:41], s[20:21], v[18:19]
	global_store_b16 v[40:41], v45, off
.LBB2_46:                               ;   in Loop: Header=BB2_10 Depth=1
	s_wait_xcnt 0x0
	s_or_b32 exec_lo, exec_lo, s9
.LBB2_47:                               ;   in Loop: Header=BB2_10 Depth=1
	s_and_saveexec_b32 s9, s5
	s_cbranch_execnz .LBB2_53
; %bb.48:                               ;   in Loop: Header=BB2_10 Depth=1
	s_or_b32 exec_lo, exec_lo, s9
	s_and_saveexec_b32 s5, s6
	s_cbranch_execnz .LBB2_54
.LBB2_49:                               ;   in Loop: Header=BB2_10 Depth=1
	s_or_b32 exec_lo, exec_lo, s5
	s_and_saveexec_b32 s5, s7
	s_cbranch_execnz .LBB2_55
.LBB2_50:                               ;   in Loop: Header=BB2_10 Depth=1
	s_or_b32 exec_lo, exec_lo, s5
	s_and_saveexec_b32 s5, s8
	s_cbranch_execz .LBB2_9
	s_branch .LBB2_56
.LBB2_51:                               ;   in Loop: Header=BB2_10 Depth=1
	v_add_nc_u64_e32 v[52:53], s[20:21], v[16:17]
	v_add_nc_u64_e32 v[54:55], s[20:21], v[18:19]
	global_load_u16 v49, v[52:53], off
	global_load_u16 v45, v[54:55], off
	s_wait_loadcnt 0x1
	v_cvt_f32_f16_e32 v49, v49
	s_wait_xcnt 0x0
	s_or_b32 exec_lo, exec_lo, s9
	s_and_saveexec_b32 s9, s8
	s_cbranch_execz .LBB2_24
.LBB2_52:                               ;   in Loop: Header=BB2_10 Depth=1
	v_add_nc_u64_e32 v[50:51], s[20:21], v[20:21]
	global_load_u16 v50, v[50:51], off
	s_wait_loadcnt 0x0
	s_wait_xcnt 0x0
	v_cvt_f32_f16_e32 v50, v50
	s_or_b32 exec_lo, exec_lo, s9
	v_cvt_f32_f16_e32 v51, v39
	s_and_not1_b32 vcc_lo, exec_lo, s29
	s_cbranch_vccz .LBB2_25
	s_branch .LBB2_26
.LBB2_53:                               ;   in Loop: Header=BB2_10 Depth=1
	v_add_nc_u64_e32 v[40:41], s[20:21], v[8:9]
	v_cvt_f16_f32_e32 v39, v43
	global_store_b16 v[40:41], v39, off
	s_wait_xcnt 0x0
	s_or_b32 exec_lo, exec_lo, s9
	s_and_saveexec_b32 s5, s6
	s_cbranch_execz .LBB2_49
.LBB2_54:                               ;   in Loop: Header=BB2_10 Depth=1
	v_add_nc_u64_e32 v[40:41], s[20:21], v[32:33]
	v_cvt_f16_f32_e32 v39, v42
	global_store_b16 v[40:41], v39, off
	s_wait_xcnt 0x0
	s_or_b32 exec_lo, exec_lo, s5
	s_and_saveexec_b32 s5, s7
	s_cbranch_execz .LBB2_50
.LBB2_55:                               ;   in Loop: Header=BB2_10 Depth=1
	v_add_nc_u64_e32 v[40:41], s[20:21], v[26:27]
	v_cvt_f16_f32_e32 v39, v44
	global_store_b16 v[40:41], v39, off
	s_wait_xcnt 0x0
	s_or_b32 exec_lo, exec_lo, s5
	s_and_saveexec_b32 s5, s8
	s_cbranch_execz .LBB2_9
.LBB2_56:                               ;   in Loop: Header=BB2_10 Depth=1
	v_add_nc_u64_e32 v[40:41], s[20:21], v[20:21]
	v_cvt_f16_f32_e32 v39, v46
	global_store_b16 v[40:41], v39, off
	s_branch .LBB2_9
.LBB2_57:                               ;   in Loop: Header=BB2_10 Depth=1
	v_add_nc_u64_e32 v[48:49], s[20:21], v[6:7]
	global_store_b16 v[48:49], v39, off
	s_wait_xcnt 0x0
	s_or_b32 exec_lo, exec_lo, s9
	s_and_saveexec_b32 s9, s6
	s_cbranch_execz .LBB2_43
.LBB2_58:                               ;   in Loop: Header=BB2_10 Depth=1
	v_add_nc_u64_e32 v[48:49], s[20:21], v[30:31]
	global_store_b16 v[48:49], v40, off
	s_wait_xcnt 0x0
	s_or_b32 exec_lo, exec_lo, s9
	s_and_saveexec_b32 s9, s7
	s_cbranch_execz .LBB2_44
.LBB2_59:                               ;   in Loop: Header=BB2_10 Depth=1
	v_add_nc_u64_e32 v[48:49], s[20:21], v[24:25]
	global_store_b16 v[48:49], v41, off
	s_wait_xcnt 0x0
	s_or_b32 exec_lo, exec_lo, s9
	s_and_saveexec_b32 s9, s8
	s_cbranch_execnz .LBB2_45
	s_branch .LBB2_46
.LBB2_60:
	s_mov_b32 s6, 0
.LBB2_61:
	s_delay_alu instid0(SALU_CYCLE_1)
	s_and_not1_b32 vcc_lo, exec_lo, s6
	s_cbranch_vccnz .LBB2_75
; %bb.62:
	v_dual_mov_b32 v3, 0 :: v_dual_lshlrev_b32 v2, 2, v0
	s_mov_b32 s4, exec_lo
	s_delay_alu instid0(VALU_DEP_1)
	v_cmpx_gt_i64_e64 s[18:19], v[2:3]
	s_cbranch_execz .LBB2_75
; %bb.63:
	s_load_b32 s0, s[0:1], 0xc9c
	s_cmp_lg_u64 s[12:13], 0
	v_dual_mov_b32 v1, v3 :: v_dual_sub_f32 v16, 1.0, v37
	s_cselect_b32 s6, -1, 0
	s_mov_b32 s5, 0
	s_delay_alu instid0(SALU_CYCLE_1)
	s_mov_b32 s8, s5
	s_wait_kmcnt 0x0
	s_and_b32 s7, s0, 0xffff
	v_cmp_neq_f32_e64 s0, 0, v35
	v_add_lshl_u32 v2, v0, s7, 2
	v_add_nc_u32_e32 v17, s7, v0
	s_lshl_b32 s4, s7, 2
	s_delay_alu instid0(VALU_DEP_2)
	v_mov_b64_e32 v[4:5], v[2:3]
	v_mov_b32_e32 v2, v0
	s_branch .LBB2_65
.LBB2_64:                               ;   in Loop: Header=BB2_65 Depth=1
	v_cmp_le_u64_e32 vcc_lo, s[18:19], v[4:5]
	v_add_nc_u32_e32 v2, s7, v2
	v_cmp_lt_u32_e64 s1, 0x3fff, v17
	v_add_nc_u32_e32 v17, s7, v17
	v_add_nc_u64_e32 v[4:5], s[4:5], v[4:5]
	s_wait_xcnt 0x0
	v_cvt_pk_f16_f32 v9, v12, v21
	v_mov_b64_e32 v[0:1], v[2:3]
	s_or_b32 s1, vcc_lo, s1
	v_cvt_pk_f16_f32 v8, v13, v19
	s_and_b32 s1, exec_lo, s1
	s_delay_alu instid0(SALU_CYCLE_1)
	s_or_b32 s8, s1, s8
	global_store_b64 v[6:7], v[8:9], off
	s_wait_xcnt 0x0
	s_and_not1_b32 exec_lo, exec_lo, s8
	s_cbranch_execz .LBB2_75
.LBB2_65:                               ; =>This Inner Loop Header: Depth=1
	v_lshlrev_b64_e32 v[6:7], 3, v[0:1]
	s_and_not1_b32 vcc_lo, exec_lo, s6
	s_delay_alu instid0(VALU_DEP_1)
	v_add_nc_u64_e32 v[0:1], s[16:17], v[6:7]
	v_add_nc_u64_e32 v[8:9], s[10:11], v[6:7]
	;; [unrolled: 1-line block ×3, first 2 shown]
	global_load_b64 v[14:15], v[0:1], off
	global_load_b64 v[10:11], v[8:9], off
	;; [unrolled: 1-line block ×3, first 2 shown]
	s_wait_loadcnt 0x2
	v_cvt_f32_f16_e32 v19, v14
	s_cbranch_vccnz .LBB2_73
; %bb.66:                               ;   in Loop: Header=BB2_65 Depth=1
	global_load_b32 v18, v3, s[12:13]
	s_wait_loadcnt 0x0
	v_div_scale_f32 v20, null, v18, v18, v19
	s_delay_alu instid0(VALU_DEP_1) | instskip(SKIP_1) | instid1(TRANS32_DEP_1)
	v_rcp_f32_e32 v21, v20
	v_nop
	v_fma_f32 v22, -v20, v21, 1.0
	s_delay_alu instid0(VALU_DEP_1) | instskip(SKIP_1) | instid1(VALU_DEP_1)
	v_fmac_f32_e32 v21, v22, v21
	v_div_scale_f32 v22, vcc_lo, v19, v18, v19
	v_mul_f32_e32 v23, v22, v21
	s_delay_alu instid0(VALU_DEP_1) | instskip(NEXT) | instid1(VALU_DEP_1)
	v_fma_f32 v24, -v20, v23, v22
	v_fmac_f32_e32 v23, v24, v21
	s_delay_alu instid0(VALU_DEP_1) | instskip(NEXT) | instid1(VALU_DEP_1)
	v_fma_f32 v20, -v20, v23, v22
	v_div_fmas_f32 v20, v20, v21, v23
	s_delay_alu instid0(VALU_DEP_1) | instskip(NEXT) | instid1(VALU_DEP_1)
	v_div_fixup_f32 v19, v20, v18, v19
	v_cvt_f16_f32_e32 v18, v19
	v_lshrrev_b32_e32 v14, 16, v14
	s_and_not1_b32 vcc_lo, exec_lo, s6
	s_delay_alu instid0(VALU_DEP_1)
	v_cvt_f32_f16_e32 v21, v14
	s_cbranch_vccnz .LBB2_68
.LBB2_67:                               ;   in Loop: Header=BB2_65 Depth=1
	global_load_b32 v14, v3, s[12:13]
	s_wait_loadcnt 0x0
	v_div_scale_f32 v20, null, v14, v14, v21
	s_delay_alu instid0(VALU_DEP_1) | instskip(SKIP_1) | instid1(TRANS32_DEP_1)
	v_rcp_f32_e32 v22, v20
	v_nop
	v_fma_f32 v23, -v20, v22, 1.0
	s_delay_alu instid0(VALU_DEP_1) | instskip(SKIP_1) | instid1(VALU_DEP_1)
	v_fmac_f32_e32 v22, v23, v22
	v_div_scale_f32 v23, vcc_lo, v21, v14, v21
	v_mul_f32_e32 v24, v23, v22
	s_delay_alu instid0(VALU_DEP_1) | instskip(NEXT) | instid1(VALU_DEP_1)
	v_fma_f32 v25, -v20, v24, v23
	v_fmac_f32_e32 v24, v25, v22
	s_delay_alu instid0(VALU_DEP_1) | instskip(NEXT) | instid1(VALU_DEP_1)
	v_fma_f32 v20, -v20, v24, v23
	v_div_fmas_f32 v20, v20, v22, v24
	s_delay_alu instid0(VALU_DEP_1) | instskip(NEXT) | instid1(VALU_DEP_1)
	v_div_fixup_f32 v21, v20, v14, v21
	v_cvt_f16_f32_e32 v14, v21
.LBB2_68:                               ;   in Loop: Header=BB2_65 Depth=1
	v_cvt_f32_f16_e32 v22, v15
	s_and_not1_b32 vcc_lo, exec_lo, s6
	s_cbranch_vccnz .LBB2_74
; %bb.69:                               ;   in Loop: Header=BB2_65 Depth=1
	global_load_b32 v20, v3, s[12:13]
	s_wait_loadcnt 0x0
	v_div_scale_f32 v23, null, v20, v20, v22
	s_delay_alu instid0(VALU_DEP_1) | instskip(SKIP_1) | instid1(TRANS32_DEP_1)
	v_rcp_f32_e32 v24, v23
	v_nop
	v_fma_f32 v25, -v23, v24, 1.0
	s_delay_alu instid0(VALU_DEP_1) | instskip(SKIP_1) | instid1(VALU_DEP_1)
	v_fmac_f32_e32 v24, v25, v24
	v_div_scale_f32 v25, vcc_lo, v22, v20, v22
	v_mul_f32_e32 v26, v25, v24
	s_delay_alu instid0(VALU_DEP_1) | instskip(NEXT) | instid1(VALU_DEP_1)
	v_fma_f32 v27, -v23, v26, v25
	v_fmac_f32_e32 v26, v27, v24
	s_delay_alu instid0(VALU_DEP_1) | instskip(NEXT) | instid1(VALU_DEP_1)
	v_fma_f32 v23, -v23, v26, v25
	v_div_fmas_f32 v23, v23, v24, v26
	s_delay_alu instid0(VALU_DEP_1) | instskip(NEXT) | instid1(VALU_DEP_1)
	v_div_fixup_f32 v22, v23, v20, v22
	v_cvt_f16_f32_e32 v20, v22
	v_lshrrev_b32_e32 v15, 16, v15
	s_and_not1_b32 vcc_lo, exec_lo, s6
	s_delay_alu instid0(VALU_DEP_1)
	v_cvt_f32_f16_e32 v23, v15
	s_cbranch_vccnz .LBB2_71
.LBB2_70:                               ;   in Loop: Header=BB2_65 Depth=1
	global_load_b32 v15, v3, s[12:13]
	s_wait_loadcnt 0x0
	v_div_scale_f32 v24, null, v15, v15, v23
	s_delay_alu instid0(VALU_DEP_1) | instskip(SKIP_1) | instid1(TRANS32_DEP_1)
	v_rcp_f32_e32 v25, v24
	v_nop
	v_fma_f32 v26, -v24, v25, 1.0
	s_delay_alu instid0(VALU_DEP_1) | instskip(SKIP_1) | instid1(VALU_DEP_1)
	v_fmac_f32_e32 v25, v26, v25
	v_div_scale_f32 v26, vcc_lo, v23, v15, v23
	v_mul_f32_e32 v27, v26, v25
	s_delay_alu instid0(VALU_DEP_1) | instskip(NEXT) | instid1(VALU_DEP_1)
	v_fma_f32 v28, -v24, v27, v26
	v_fmac_f32_e32 v27, v28, v25
	s_delay_alu instid0(VALU_DEP_1) | instskip(NEXT) | instid1(VALU_DEP_1)
	v_fma_f32 v24, -v24, v27, v26
	v_div_fmas_f32 v24, v24, v25, v27
	s_delay_alu instid0(VALU_DEP_1) | instskip(NEXT) | instid1(VALU_DEP_1)
	v_div_fixup_f32 v23, v24, v15, v23
	v_cvt_f16_f32_e32 v15, v23
.LBB2_71:                               ;   in Loop: Header=BB2_65 Depth=1
	v_dual_cndmask_b32 v22, v22, -v22, s28 :: v_dual_cndmask_b32 v19, v19, -v19, s28
	s_delay_alu instid0(VALU_DEP_2) | instskip(SKIP_2) | instid1(VALU_DEP_2)
	v_dual_cndmask_b32 v21, v21, -v21, s28 :: v_dual_cndmask_b32 v23, v23, -v23, s28
	s_and_not1_b32 vcc_lo, exec_lo, s6
	s_wait_loadcnt 0x1
	v_fma_mix_f32 v24, v35, v11, v22 op_sel_hi:[0,1,0]
	v_fma_mix_f32 v25, v35, v10, v19 op_sel_hi:[0,1,0]
	v_fma_mix_f32 v26, v35, v10, v21 op_sel:[0,1,0] op_sel_hi:[0,1,0]
	v_fma_mix_f32 v27, v35, v11, v23 op_sel:[0,1,0] op_sel_hi:[0,1,0]
	s_delay_alu instid0(VALU_DEP_3) | instskip(NEXT) | instid1(VALU_DEP_2)
	v_dual_cndmask_b32 v22, v22, v24, s0 :: v_dual_cndmask_b32 v24, v19, v25, s0
	v_dual_cndmask_b32 v25, v21, v26, s0 :: v_dual_cndmask_b32 v23, v23, v27, s0
	s_delay_alu instid0(VALU_DEP_2) | instskip(NEXT) | instid1(VALU_DEP_2)
	v_dual_mul_f32 v19, v16, v22 :: v_dual_mul_f32 v21, v16, v24
	v_dual_mul_f32 v26, v16, v25 :: v_dual_mul_f32 v27, v16, v23
	s_wait_loadcnt 0x0
	s_delay_alu instid0(VALU_DEP_2) | instskip(NEXT) | instid1(VALU_DEP_3)
	v_fma_mix_f32 v19, v36, v13, v19 op_sel_hi:[0,1,0]
	v_fma_mix_f32 v21, v36, v12, v21 op_sel_hi:[0,1,0]
	s_delay_alu instid0(VALU_DEP_3) | instskip(SKIP_1) | instid1(VALU_DEP_3)
	v_fma_mix_f32 v26, v36, v12, v26 op_sel:[0,1,0] op_sel_hi:[0,1,0]
	v_fma_mix_f32 v27, v36, v13, v27 op_sel:[0,1,0] op_sel_hi:[0,1,0]
	v_dual_cndmask_b32 v12, v19, v22, s3 :: v_dual_cndmask_b32 v13, v21, v24, s3
	s_delay_alu instid0(VALU_DEP_2) | instskip(NEXT) | instid1(VALU_DEP_2)
	v_dual_cndmask_b32 v19, v26, v25, s3 :: v_dual_cndmask_b32 v21, v27, v23, s3
	v_dual_fmac_f32 v22, v12, v36 :: v_dual_fmac_f32 v24, v13, v36
	s_delay_alu instid0(VALU_DEP_2) | instskip(NEXT) | instid1(VALU_DEP_2)
	v_dual_fmac_f32 v25, v19, v36 :: v_dual_fmac_f32 v23, v21, v36
	v_dual_cndmask_b32 v22, v12, v22, s2 :: v_dual_cndmask_b32 v24, v13, v24, s2
	s_delay_alu instid0(VALU_DEP_2) | instskip(NEXT) | instid1(VALU_DEP_2)
	v_dual_cndmask_b32 v25, v19, v25, s2 :: v_dual_cndmask_b32 v26, v21, v23, s2
	v_fma_mixlo_f16 v23, -v34, v22, v11 op_sel_hi:[0,0,1]
	s_delay_alu instid0(VALU_DEP_3) | instskip(NEXT) | instid1(VALU_DEP_2)
	v_fma_mixlo_f16 v22, -v34, v24, v10 op_sel_hi:[0,0,1]
	v_fma_mixhi_f16 v23, -v34, v26, v11 op_sel:[0,0,1] op_sel_hi:[0,0,1]
	s_delay_alu instid0(VALU_DEP_2)
	v_fma_mixhi_f16 v22, -v34, v25, v10 op_sel:[0,0,1] op_sel_hi:[0,0,1]
	global_store_b64 v[8:9], v[22:23], off
	s_cbranch_vccnz .LBB2_64
; %bb.72:                               ;   in Loop: Header=BB2_65 Depth=1
	s_wait_xcnt 0x0
	v_perm_b32 v9, v15, v20, 0x5040100
	v_perm_b32 v8, v14, v18, 0x5040100
	global_store_b64 v[0:1], v[8:9], off
	s_branch .LBB2_64
.LBB2_73:                               ;   in Loop: Header=BB2_65 Depth=1
	v_dual_mov_b32 v18, v14 :: v_dual_lshrrev_b32 v14, 16, v14
	s_and_not1_b32 vcc_lo, exec_lo, s6
	s_delay_alu instid0(VALU_DEP_1)
	v_cvt_f32_f16_e32 v21, v14
	s_cbranch_vccz .LBB2_67
	s_branch .LBB2_68
.LBB2_74:                               ;   in Loop: Header=BB2_65 Depth=1
	v_dual_mov_b32 v20, v15 :: v_dual_lshrrev_b32 v15, 16, v15
	s_and_not1_b32 vcc_lo, exec_lo, s6
	s_delay_alu instid0(VALU_DEP_1)
	v_cvt_f32_f16_e32 v23, v15
	s_cbranch_vccz .LBB2_70
	s_branch .LBB2_71
.LBB2_75:
	s_endpgm
.LBB2_76:
                                        ; implicit-def: $sgpr2
	s_load_b32 s18, s[16:17], 0x740
	v_mov_b32_e32 v34, s2
	s_branch .LBB2_5
	.section	.rodata,"a",@progbits
	.p2align	6, 0x0
	.amdhsa_kernel _ZN2at6native12_GLOBAL__N_125multi_tensor_apply_kernelINS1_18TensorListMetadataILi3EEENS1_19FusedSgdMathFunctorIN3c104HalfELi3EEEJddPfddbbbS9_S9_EEEvT_T0_DpT1_
		.amdhsa_group_segment_fixed_size 0
		.amdhsa_private_segment_fixed_size 0
		.amdhsa_kernarg_size 3472
		.amdhsa_user_sgpr_count 2
		.amdhsa_user_sgpr_dispatch_ptr 0
		.amdhsa_user_sgpr_queue_ptr 0
		.amdhsa_user_sgpr_kernarg_segment_ptr 1
		.amdhsa_user_sgpr_dispatch_id 0
		.amdhsa_user_sgpr_kernarg_preload_length 0
		.amdhsa_user_sgpr_kernarg_preload_offset 0
		.amdhsa_user_sgpr_private_segment_size 0
		.amdhsa_wavefront_size32 1
		.amdhsa_uses_dynamic_stack 0
		.amdhsa_enable_private_segment 0
		.amdhsa_system_sgpr_workgroup_id_x 1
		.amdhsa_system_sgpr_workgroup_id_y 0
		.amdhsa_system_sgpr_workgroup_id_z 0
		.amdhsa_system_sgpr_workgroup_info 0
		.amdhsa_system_vgpr_workitem_id 0
		.amdhsa_next_free_vgpr 59
		.amdhsa_next_free_sgpr 32
		.amdhsa_named_barrier_count 0
		.amdhsa_reserve_vcc 1
		.amdhsa_float_round_mode_32 0
		.amdhsa_float_round_mode_16_64 0
		.amdhsa_float_denorm_mode_32 3
		.amdhsa_float_denorm_mode_16_64 3
		.amdhsa_fp16_overflow 0
		.amdhsa_memory_ordered 1
		.amdhsa_forward_progress 1
		.amdhsa_inst_pref_size 30
		.amdhsa_round_robin_scheduling 0
		.amdhsa_exception_fp_ieee_invalid_op 0
		.amdhsa_exception_fp_denorm_src 0
		.amdhsa_exception_fp_ieee_div_zero 0
		.amdhsa_exception_fp_ieee_overflow 0
		.amdhsa_exception_fp_ieee_underflow 0
		.amdhsa_exception_fp_ieee_inexact 0
		.amdhsa_exception_int_div_zero 0
	.end_amdhsa_kernel
	.section	.text._ZN2at6native12_GLOBAL__N_125multi_tensor_apply_kernelINS1_18TensorListMetadataILi3EEENS1_19FusedSgdMathFunctorIN3c104HalfELi3EEEJddPfddbbbS9_S9_EEEvT_T0_DpT1_,"axG",@progbits,_ZN2at6native12_GLOBAL__N_125multi_tensor_apply_kernelINS1_18TensorListMetadataILi3EEENS1_19FusedSgdMathFunctorIN3c104HalfELi3EEEJddPfddbbbS9_S9_EEEvT_T0_DpT1_,comdat
.Lfunc_end2:
	.size	_ZN2at6native12_GLOBAL__N_125multi_tensor_apply_kernelINS1_18TensorListMetadataILi3EEENS1_19FusedSgdMathFunctorIN3c104HalfELi3EEEJddPfddbbbS9_S9_EEEvT_T0_DpT1_, .Lfunc_end2-_ZN2at6native12_GLOBAL__N_125multi_tensor_apply_kernelINS1_18TensorListMetadataILi3EEENS1_19FusedSgdMathFunctorIN3c104HalfELi3EEEJddPfddbbbS9_S9_EEEvT_T0_DpT1_
                                        ; -- End function
	.set _ZN2at6native12_GLOBAL__N_125multi_tensor_apply_kernelINS1_18TensorListMetadataILi3EEENS1_19FusedSgdMathFunctorIN3c104HalfELi3EEEJddPfddbbbS9_S9_EEEvT_T0_DpT1_.num_vgpr, 59
	.set _ZN2at6native12_GLOBAL__N_125multi_tensor_apply_kernelINS1_18TensorListMetadataILi3EEENS1_19FusedSgdMathFunctorIN3c104HalfELi3EEEJddPfddbbbS9_S9_EEEvT_T0_DpT1_.num_agpr, 0
	.set _ZN2at6native12_GLOBAL__N_125multi_tensor_apply_kernelINS1_18TensorListMetadataILi3EEENS1_19FusedSgdMathFunctorIN3c104HalfELi3EEEJddPfddbbbS9_S9_EEEvT_T0_DpT1_.numbered_sgpr, 32
	.set _ZN2at6native12_GLOBAL__N_125multi_tensor_apply_kernelINS1_18TensorListMetadataILi3EEENS1_19FusedSgdMathFunctorIN3c104HalfELi3EEEJddPfddbbbS9_S9_EEEvT_T0_DpT1_.num_named_barrier, 0
	.set _ZN2at6native12_GLOBAL__N_125multi_tensor_apply_kernelINS1_18TensorListMetadataILi3EEENS1_19FusedSgdMathFunctorIN3c104HalfELi3EEEJddPfddbbbS9_S9_EEEvT_T0_DpT1_.private_seg_size, 0
	.set _ZN2at6native12_GLOBAL__N_125multi_tensor_apply_kernelINS1_18TensorListMetadataILi3EEENS1_19FusedSgdMathFunctorIN3c104HalfELi3EEEJddPfddbbbS9_S9_EEEvT_T0_DpT1_.uses_vcc, 1
	.set _ZN2at6native12_GLOBAL__N_125multi_tensor_apply_kernelINS1_18TensorListMetadataILi3EEENS1_19FusedSgdMathFunctorIN3c104HalfELi3EEEJddPfddbbbS9_S9_EEEvT_T0_DpT1_.uses_flat_scratch, 0
	.set _ZN2at6native12_GLOBAL__N_125multi_tensor_apply_kernelINS1_18TensorListMetadataILi3EEENS1_19FusedSgdMathFunctorIN3c104HalfELi3EEEJddPfddbbbS9_S9_EEEvT_T0_DpT1_.has_dyn_sized_stack, 0
	.set _ZN2at6native12_GLOBAL__N_125multi_tensor_apply_kernelINS1_18TensorListMetadataILi3EEENS1_19FusedSgdMathFunctorIN3c104HalfELi3EEEJddPfddbbbS9_S9_EEEvT_T0_DpT1_.has_recursion, 0
	.set _ZN2at6native12_GLOBAL__N_125multi_tensor_apply_kernelINS1_18TensorListMetadataILi3EEENS1_19FusedSgdMathFunctorIN3c104HalfELi3EEEJddPfddbbbS9_S9_EEEvT_T0_DpT1_.has_indirect_call, 0
	.section	.AMDGPU.csdata,"",@progbits
; Kernel info:
; codeLenInByte = 3772
; TotalNumSgprs: 34
; NumVgprs: 59
; ScratchSize: 0
; MemoryBound: 0
; FloatMode: 240
; IeeeMode: 1
; LDSByteSize: 0 bytes/workgroup (compile time only)
; SGPRBlocks: 0
; VGPRBlocks: 3
; NumSGPRsForWavesPerEU: 34
; NumVGPRsForWavesPerEU: 59
; NamedBarCnt: 0
; Occupancy: 16
; WaveLimiterHint : 0
; COMPUTE_PGM_RSRC2:SCRATCH_EN: 0
; COMPUTE_PGM_RSRC2:USER_SGPR: 2
; COMPUTE_PGM_RSRC2:TRAP_HANDLER: 0
; COMPUTE_PGM_RSRC2:TGID_X_EN: 1
; COMPUTE_PGM_RSRC2:TGID_Y_EN: 0
; COMPUTE_PGM_RSRC2:TGID_Z_EN: 0
; COMPUTE_PGM_RSRC2:TIDIG_COMP_CNT: 0
	.section	.text._ZN2at6native12_GLOBAL__N_125multi_tensor_apply_kernelINS1_18TensorListMetadataILi3EEENS1_19FusedSgdMathFunctorIN3c108BFloat16ELi3EEEJddPfddbbbS9_S9_EEEvT_T0_DpT1_,"axG",@progbits,_ZN2at6native12_GLOBAL__N_125multi_tensor_apply_kernelINS1_18TensorListMetadataILi3EEENS1_19FusedSgdMathFunctorIN3c108BFloat16ELi3EEEJddPfddbbbS9_S9_EEEvT_T0_DpT1_,comdat
	.globl	_ZN2at6native12_GLOBAL__N_125multi_tensor_apply_kernelINS1_18TensorListMetadataILi3EEENS1_19FusedSgdMathFunctorIN3c108BFloat16ELi3EEEJddPfddbbbS9_S9_EEEvT_T0_DpT1_ ; -- Begin function _ZN2at6native12_GLOBAL__N_125multi_tensor_apply_kernelINS1_18TensorListMetadataILi3EEENS1_19FusedSgdMathFunctorIN3c108BFloat16ELi3EEEJddPfddbbbS9_S9_EEEvT_T0_DpT1_
	.p2align	8
	.type	_ZN2at6native12_GLOBAL__N_125multi_tensor_apply_kernelINS1_18TensorListMetadataILi3EEENS1_19FusedSgdMathFunctorIN3c108BFloat16ELi3EEEJddPfddbbbS9_S9_EEEvT_T0_DpT1_,@function
_ZN2at6native12_GLOBAL__N_125multi_tensor_apply_kernelINS1_18TensorListMetadataILi3EEENS1_19FusedSgdMathFunctorIN3c108BFloat16ELi3EEEJddPfddbbbS9_S9_EEEvT_T0_DpT1_: ; @_ZN2at6native12_GLOBAL__N_125multi_tensor_apply_kernelINS1_18TensorListMetadataILi3EEENS1_19FusedSgdMathFunctorIN3c108BFloat16ELi3EEEJddPfddbbbS9_S9_EEEvT_T0_DpT1_
; %bb.0:
	s_load_b128 s[12:15], s[0:1], 0xc80
	s_wait_kmcnt 0x0
	s_cmp_eq_u64 s[14:15], 0
	s_cselect_b32 s2, -1, 0
	s_delay_alu instid0(SALU_CYCLE_1)
	s_and_b32 vcc_lo, exec_lo, s2
	s_cbranch_vccnz .LBB3_2
; %bb.1:
	s_load_b32 s2, s[14:15], 0x0
	s_wait_kmcnt 0x0
	s_cmp_neq_f32 s2, 1.0
	s_cselect_b32 s2, -1, 0
.LBB3_2:
	s_delay_alu instid0(SALU_CYCLE_1)
	s_and_not1_b32 vcc_lo, exec_lo, s2
	s_cbranch_vccnz .LBB3_75
; %bb.3:
	s_bfe_u32 s2, ttmp6, 0x4000c
	s_and_b32 s3, ttmp6, 15
	s_add_co_i32 s2, s2, 1
	s_getreg_b32 s4, hwreg(HW_REG_IB_STS2, 6, 4)
	s_mul_i32 s2, ttmp9, s2
	s_delay_alu instid0(SALU_CYCLE_1)
	s_add_co_i32 s3, s3, s2
	s_cmp_eq_u32 s4, 0
	s_cselect_b32 s2, ttmp9, s3
	s_mov_b32 s3, 0
	v_mov_b32_e32 v1, s2
	s_add_nc_u64 s[16:17], s[0:1], s[2:3]
	s_mul_u64 s[20:21], s[2:3], 3
	s_delay_alu instid0(SALU_CYCLE_1)
	s_add_nc_u64 s[16:17], s[16:17], s[20:21]
	global_load_u8 v1, v1, s[0:1] offset:1536
	s_clause 0x1
	s_load_b256 s[4:11], s[0:1], 0xc50
	s_load_b64 s[14:15], s[0:1], 0xc70
	s_wait_kmcnt 0x0
	s_cmp_eq_u64 s[8:9], 0
	s_wait_loadcnt 0x0
	v_readfirstlane_b32 s19, v1
	s_cbranch_scc1 .LBB3_76
; %bb.4:
	s_load_b32 s2, s[8:9], 0x0
	s_load_b32 s18, s[16:17], 0x740
	s_wait_kmcnt 0x0
	v_mov_b32_e32 v46, s2
	s_and_not1_b32 vcc_lo, exec_lo, s3
	s_cbranch_vccnz .LBB3_6
.LBB3_5:
	v_cvt_f32_f64_e32 v46, s[10:11]
.LBB3_6:
	s_load_b32 s3, s[0:1], 0xc78
	v_cvt_f32_f64_e32 v47, s[4:5]
	v_cvt_f32_f64_e32 v2, s[6:7]
	;; [unrolled: 1-line block ×3, first 2 shown]
	s_mov_b32 s23, 0
	s_delay_alu instid0(SALU_CYCLE_1)
	s_mov_b32 s27, s23
	s_wait_kmcnt 0x0
	s_bitcmp1_b32 s3, 0
	s_cselect_b32 s2, -1, 0
	s_bitcmp1_b32 s3, 8
	s_cselect_b32 s28, -1, 0
	;; [unrolled: 2-line block ×3, first 2 shown]
	s_and_b32 s10, s19, 0xff
	s_clause 0x3
	s_load_b64 s[4:5], s[0:1], s10 offset:0x0 scale_offset
	s_load_b64 s[8:9], s[0:1], s10 offset:0x180 scale_offset
	s_load_b64 s[24:25], s[0:1], s10 offset:0x300 scale_offset
	s_load_b64 s[6:7], s[0:1], s10 offset:0x480 scale_offset
	s_ashr_i32 s19, s18, 31
	s_delay_alu instid0(SALU_CYCLE_1)
	s_lshl_b64 s[20:21], s[18:19], 17
	s_lshl_b64 s[18:19], s[18:19], 16
	s_wait_kmcnt 0x0
	s_add_nc_u64 s[10:11], s[4:5], s[20:21]
	s_add_nc_u64 s[16:17], s[8:9], s[20:21]
	;; [unrolled: 1-line block ×3, first 2 shown]
	s_and_b64 s[30:31], s[6:7], 3
	s_and_b32 s26, s14, 7
	s_and_b32 s22, s16, 7
	s_or_b64 s[26:27], s[30:31], s[26:27]
	s_and_b64 s[30:31], s[10:11], 7
	s_or_b64 s[22:23], s[26:27], s[22:23]
	s_sub_nc_u64 s[18:19], s[6:7], s[18:19]
	s_or_b64 s[22:23], s[22:23], s[30:31]
	s_mov_b32 s6, -1
	s_cmp_eq_u64 s[22:23], 0
	s_cbranch_scc1 .LBB3_61
; %bb.7:
	v_cmp_lt_i64_e64 s6, s[18:19], 1
	s_and_b32 vcc_lo, exec_lo, s6
	s_cbranch_vccnz .LBB3_60
; %bb.8:
	s_load_b32 s6, s[0:1], 0xc9c
	v_min_i64 v[6:7], 0x10000, s[18:19]
	v_dual_mov_b32 v4, 0 :: v_dual_lshlrev_b32 v16, 1, v0
	s_mov_b32 s23, 0
	v_sub_f32_e32 v3, 1.0, v48
	s_mov_b32 s7, s23
	s_delay_alu instid0(VALU_DEP_2) | instskip(SKIP_2) | instid1(VALU_DEP_1)
	v_dual_mov_b32 v17, v4 :: v_dual_mov_b32 v1, v4
	s_mov_b32 s27, s23
	s_mov_b32 s31, s23
	v_add_nc_u64_e32 v[8:9], s[4:5], v[16:17]
	v_add_nc_u64_e32 v[10:11], s[8:9], v[16:17]
	v_add_nc_u64_e32 v[12:13], s[24:25], v[16:17]
	s_wait_kmcnt 0x0
	s_and_b32 s6, s6, 0xffff
	s_delay_alu instid0(SALU_CYCLE_1)
	s_lshl_b32 s26, s6, 1
	v_add_nc_u64_e32 v[14:15], s[6:7], v[0:1]
	v_mad_nc_u64_u32 v[24:25], s6, 6, v[16:17]
	s_cmp_lg_u64 s[12:13], 0
	v_mov_b32_e32 v37, v4
	s_cselect_b32 s29, -1, 0
	s_lshl_b32 s22, s6, 2
	s_mul_i32 s30, s6, 3
	v_add_nc_u64_e32 v[30:31], s[22:23], v[16:17]
	v_lshlrev_b32_e32 v36, 1, v14
	v_add_nc_u64_e32 v[16:17], s[30:31], v[0:1]
	v_add_nc_u64_e32 v[18:19], s[26:27], v[0:1]
	s_lshl_b32 s26, s6, 3
	v_add_nc_u64_e32 v[20:21], s[4:5], v[24:25]
	v_add_nc_u64_e32 v[22:23], s[8:9], v[24:25]
	;; [unrolled: 1-line block ×9, first 2 shown]
	v_cmp_neq_f32_e64 s4, 0, v47
	s_mov_b64 s[24:25], 0
	s_branch .LBB3_10
.LBB3_9:                                ;   in Loop: Header=BB3_10 Depth=1
	s_wait_xcnt 0x0
	s_or_b32 exec_lo, exec_lo, s5
	s_add_nc_u64 s[24:25], s[24:25], s[22:23]
	v_add_nc_u64_e32 v[8:9], s[26:27], v[8:9]
	v_cmp_lt_i64_e32 vcc_lo, s[24:25], v[6:7]
	v_add_nc_u64_e32 v[10:11], s[26:27], v[10:11]
	v_add_nc_u64_e32 v[12:13], s[26:27], v[12:13]
	;; [unrolled: 1-line block ×11, first 2 shown]
	s_cbranch_vccz .LBB3_60
.LBB3_10:                               ; =>This Inner Loop Header: Depth=1
	v_add_nc_u64_e32 v[40:41], s[24:25], v[0:1]
	v_mov_b64_e32 v[42:43], 0
	v_mov_b64_e32 v[38:39], 0
	s_delay_alu instid0(VALU_DEP_3)
	v_cmp_lt_i64_e64 s5, v[40:41], v[6:7]
	v_mov_b64_e32 v[40:41], 0
	s_and_saveexec_b32 s6, s5
	s_cbranch_execz .LBB3_12
; %bb.11:                               ;   in Loop: Header=BB3_10 Depth=1
	v_add_nc_u64_e32 v[38:39], s[20:21], v[8:9]
	v_add_nc_u64_e32 v[40:41], s[20:21], v[10:11]
	global_load_u16 v5, v[38:39], off
	global_load_u16 v44, v[40:41], off
	s_wait_xcnt 0x0
	v_dual_mov_b32 v41, s23 :: v_dual_mov_b32 v39, s23
	s_wait_loadcnt 0x1
	v_and_b32_e32 v40, 0xffff, v5
	s_wait_loadcnt 0x0
	v_and_b32_e32 v38, 0xffff, v44
.LBB3_12:                               ;   in Loop: Header=BB3_10 Depth=1
	s_or_b32 exec_lo, exec_lo, s6
	s_and_saveexec_b32 s6, s5
	s_cbranch_execz .LBB3_14
; %bb.13:                               ;   in Loop: Header=BB3_10 Depth=1
	v_add_nc_u64_e32 v[42:43], s[20:21], v[12:13]
	global_load_u16 v5, v[42:43], off
	s_wait_xcnt 0x0
	v_mov_b32_e32 v43, s23
	s_wait_loadcnt 0x0
	v_and_b32_e32 v42, 0xffff, v5
.LBB3_14:                               ;   in Loop: Header=BB3_10 Depth=1
	s_or_b32 exec_lo, exec_lo, s6
	v_add_nc_u64_e32 v[44:45], s[24:25], v[14:15]
	s_delay_alu instid0(VALU_DEP_1)
	v_cmp_lt_i64_e64 s6, v[44:45], v[6:7]
	s_and_saveexec_b32 s7, s6
	s_cbranch_execz .LBB3_16
; %bb.15:                               ;   in Loop: Header=BB3_10 Depth=1
	v_add_nc_u64_e32 v[44:45], s[20:21], v[32:33]
	v_add_nc_u64_e32 v[50:51], s[20:21], v[34:35]
	global_load_u16 v5, v[44:45], off
	global_load_u16 v49, v[50:51], off
	s_wait_loadcnt 0x1
	v_lshl_or_b32 v40, v5, 16, v40
	s_wait_loadcnt 0x0
	v_lshl_or_b32 v38, v49, 16, v38
.LBB3_16:                               ;   in Loop: Header=BB3_10 Depth=1
	s_wait_xcnt 0x0
	s_or_b32 exec_lo, exec_lo, s7
	s_and_saveexec_b32 s7, s6
	s_cbranch_execz .LBB3_18
; %bb.17:                               ;   in Loop: Header=BB3_10 Depth=1
	v_add_nc_u64_e32 v[44:45], s[20:21], v[36:37]
	global_load_u16 v5, v[44:45], off
	s_wait_loadcnt 0x0
	v_lshl_or_b32 v42, v5, 16, v42
.LBB3_18:                               ;   in Loop: Header=BB3_10 Depth=1
	s_wait_xcnt 0x0
	s_or_b32 exec_lo, exec_lo, s7
	v_add_nc_u64_e32 v[44:45], s[24:25], v[18:19]
	s_mov_b32 s8, exec_lo
	s_delay_alu instid0(VALU_DEP_1) | instskip(SKIP_2) | instid1(SALU_CYCLE_1)
	v_cmp_lt_i64_e64 s7, v[44:45], v[6:7]
	v_cmpx_ge_i64_e64 v[44:45], v[6:7]
	s_xor_b32 s8, exec_lo, s8
	s_and_not1_saveexec_b32 s8, s8
	s_cbranch_execz .LBB3_20
; %bb.19:                               ;   in Loop: Header=BB3_10 Depth=1
	v_add_nc_u64_e32 v[44:45], s[20:21], v[26:27]
	v_add_nc_u64_e32 v[50:51], s[20:21], v[28:29]
	global_load_u16 v5, v[44:45], off
	global_load_u16 v49, v[50:51], off
	s_wait_loadcnt 0x1
	v_or_b32_e32 v41, v5, v41
	s_wait_loadcnt 0x0
	v_or_b32_e32 v39, v49, v39
.LBB3_20:                               ;   in Loop: Header=BB3_10 Depth=1
	s_wait_xcnt 0x0
	s_or_b32 exec_lo, exec_lo, s8
	s_and_saveexec_b32 s8, s7
	s_cbranch_execz .LBB3_22
; %bb.21:                               ;   in Loop: Header=BB3_10 Depth=1
	v_add_nc_u64_e32 v[44:45], s[20:21], v[30:31]
	global_load_u16 v5, v[44:45], off
	s_wait_loadcnt 0x0
	v_or_b32_e32 v43, v5, v43
.LBB3_22:                               ;   in Loop: Header=BB3_10 Depth=1
	s_wait_xcnt 0x0
	s_or_b32 exec_lo, exec_lo, s8
	v_add_nc_u64_e32 v[44:45], s[24:25], v[16:17]
	s_delay_alu instid0(VALU_DEP_1)
	v_cmp_lt_i64_e64 s8, v[44:45], v[6:7]
	s_and_saveexec_b32 s9, s8
	s_cbranch_execnz .LBB3_51
; %bb.23:                               ;   in Loop: Header=BB3_10 Depth=1
	s_or_b32 exec_lo, exec_lo, s9
	s_and_saveexec_b32 s9, s8
	s_cbranch_execnz .LBB3_52
.LBB3_24:                               ;   in Loop: Header=BB3_10 Depth=1
	s_or_b32 exec_lo, exec_lo, s9
	v_lshlrev_b32_e32 v5, 16, v38
	s_and_not1_b32 vcc_lo, exec_lo, s29
	s_cbranch_vccnz .LBB3_26
.LBB3_25:                               ;   in Loop: Header=BB3_10 Depth=1
	s_load_b32 s9, s[12:13], 0x0
	v_and_b32_e32 v38, 0xffff0000, v38
	s_wait_kmcnt 0x0
	v_div_scale_f32 v44, null, s9, s9, v5
	v_div_scale_f32 v50, vcc_lo, v5, s9, v5
	s_delay_alu instid0(VALU_DEP_2) | instskip(SKIP_1) | instid1(TRANS32_DEP_1)
	v_rcp_f32_e32 v45, v44
	v_nop
	v_fma_f32 v49, -v44, v45, 1.0
	s_delay_alu instid0(VALU_DEP_1) | instskip(NEXT) | instid1(VALU_DEP_1)
	v_fmac_f32_e32 v45, v49, v45
	v_mul_f32_e32 v49, v50, v45
	s_delay_alu instid0(VALU_DEP_1) | instskip(NEXT) | instid1(VALU_DEP_1)
	v_fma_f32 v51, -v44, v49, v50
	v_fmac_f32_e32 v49, v51, v45
	s_delay_alu instid0(VALU_DEP_1) | instskip(NEXT) | instid1(VALU_DEP_1)
	v_fma_f32 v44, -v44, v49, v50
	v_div_fmas_f32 v44, v44, v45, v49
	s_delay_alu instid0(VALU_DEP_1) | instskip(NEXT) | instid1(VALU_DEP_1)
	v_div_fixup_f32 v5, v44, s9, v5
	v_bfe_u32 v44, v5, 16, 1
	v_cmp_o_f32_e32 vcc_lo, v5, v5
	s_delay_alu instid0(VALU_DEP_2) | instskip(NEXT) | instid1(VALU_DEP_1)
	v_add3_u32 v44, v5, v44, 0x7fff
	v_lshrrev_b32_e32 v44, 16, v44
	s_delay_alu instid0(VALU_DEP_1) | instskip(NEXT) | instid1(VALU_DEP_1)
	v_cndmask_b32_e32 v44, 0x7fc0, v44, vcc_lo
	v_or_b32_e32 v38, v44, v38
.LBB3_26:                               ;   in Loop: Header=BB3_10 Depth=1
	s_delay_alu instid0(VALU_DEP_1)
	v_and_b32_e32 v49, 0xffff0000, v38
	s_and_not1_b32 vcc_lo, exec_lo, s29
	s_cbranch_vccnz .LBB3_28
; %bb.27:                               ;   in Loop: Header=BB3_10 Depth=1
	s_load_b32 s9, s[12:13], 0x0
	v_and_b32_e32 v38, 0xffff, v38
	s_wait_kmcnt 0x0
	v_div_scale_f32 v44, null, s9, s9, v49
	v_div_scale_f32 v51, vcc_lo, v49, s9, v49
	s_delay_alu instid0(VALU_DEP_2) | instskip(SKIP_1) | instid1(TRANS32_DEP_1)
	v_rcp_f32_e32 v45, v44
	v_nop
	v_fma_f32 v50, -v44, v45, 1.0
	s_delay_alu instid0(VALU_DEP_1) | instskip(NEXT) | instid1(VALU_DEP_1)
	v_fmac_f32_e32 v45, v50, v45
	v_mul_f32_e32 v50, v51, v45
	s_delay_alu instid0(VALU_DEP_1) | instskip(NEXT) | instid1(VALU_DEP_1)
	v_fma_f32 v52, -v44, v50, v51
	v_fmac_f32_e32 v50, v52, v45
	s_delay_alu instid0(VALU_DEP_1) | instskip(NEXT) | instid1(VALU_DEP_1)
	v_fma_f32 v44, -v44, v50, v51
	v_div_fmas_f32 v44, v44, v45, v50
	s_delay_alu instid0(VALU_DEP_1) | instskip(NEXT) | instid1(VALU_DEP_1)
	v_div_fixup_f32 v49, v44, s9, v49
	v_bfe_u32 v44, v49, 16, 1
	v_cmp_o_f32_e32 vcc_lo, v49, v49
	s_delay_alu instid0(VALU_DEP_2) | instskip(NEXT) | instid1(VALU_DEP_1)
	v_add3_u32 v44, v49, v44, 0x7fff
	v_and_b32_e32 v44, 0xffff0000, v44
	s_delay_alu instid0(VALU_DEP_1) | instskip(NEXT) | instid1(VALU_DEP_1)
	v_cndmask_b32_e32 v44, 0x7fc00000, v44, vcc_lo
	v_or_b32_e32 v38, v44, v38
.LBB3_28:                               ;   in Loop: Header=BB3_10 Depth=1
	s_delay_alu instid0(VALU_DEP_1) | instskip(SKIP_1) | instid1(VALU_DEP_1)
	v_alignbit_b32 v44, v39, v38, 16
	s_and_not1_b32 vcc_lo, exec_lo, s29
	v_and_b32_e32 v50, 0xffff0000, v44
	s_cbranch_vccnz .LBB3_30
; %bb.29:                               ;   in Loop: Header=BB3_10 Depth=1
	s_load_b32 s9, s[12:13], 0x0
	v_and_b32_e32 v39, 0xffff0000, v39
	s_wait_kmcnt 0x0
	v_div_scale_f32 v44, null, s9, s9, v50
	v_div_scale_f32 v52, vcc_lo, v50, s9, v50
	s_delay_alu instid0(VALU_DEP_2) | instskip(SKIP_1) | instid1(TRANS32_DEP_1)
	v_rcp_f32_e32 v45, v44
	v_nop
	v_fma_f32 v51, -v44, v45, 1.0
	s_delay_alu instid0(VALU_DEP_1) | instskip(NEXT) | instid1(VALU_DEP_1)
	v_fmac_f32_e32 v45, v51, v45
	v_mul_f32_e32 v51, v52, v45
	s_delay_alu instid0(VALU_DEP_1) | instskip(NEXT) | instid1(VALU_DEP_1)
	v_fma_f32 v53, -v44, v51, v52
	v_fmac_f32_e32 v51, v53, v45
	s_delay_alu instid0(VALU_DEP_1) | instskip(NEXT) | instid1(VALU_DEP_1)
	v_fma_f32 v44, -v44, v51, v52
	v_div_fmas_f32 v44, v44, v45, v51
	s_delay_alu instid0(VALU_DEP_1) | instskip(NEXT) | instid1(VALU_DEP_1)
	v_div_fixup_f32 v50, v44, s9, v50
	v_bfe_u32 v44, v50, 16, 1
	v_cmp_o_f32_e32 vcc_lo, v50, v50
	s_delay_alu instid0(VALU_DEP_2) | instskip(NEXT) | instid1(VALU_DEP_1)
	v_add3_u32 v44, v50, v44, 0x7fff
	v_lshrrev_b32_e32 v44, 16, v44
	s_delay_alu instid0(VALU_DEP_1) | instskip(NEXT) | instid1(VALU_DEP_1)
	v_cndmask_b32_e32 v44, 0x7fc0, v44, vcc_lo
	v_or_b32_e32 v39, v44, v39
.LBB3_30:                               ;   in Loop: Header=BB3_10 Depth=1
	s_delay_alu instid0(VALU_DEP_1)
	v_and_b32_e32 v51, 0xffff0000, v39
	s_and_not1_b32 vcc_lo, exec_lo, s29
	s_cbranch_vccnz .LBB3_32
; %bb.31:                               ;   in Loop: Header=BB3_10 Depth=1
	s_load_b32 s9, s[12:13], 0x0
	v_and_b32_e32 v39, 0xffff, v39
	s_wait_kmcnt 0x0
	v_div_scale_f32 v44, null, s9, s9, v51
	v_div_scale_f32 v53, vcc_lo, v51, s9, v51
	s_delay_alu instid0(VALU_DEP_2) | instskip(SKIP_1) | instid1(TRANS32_DEP_1)
	v_rcp_f32_e32 v45, v44
	v_nop
	v_fma_f32 v52, -v44, v45, 1.0
	s_delay_alu instid0(VALU_DEP_1) | instskip(NEXT) | instid1(VALU_DEP_1)
	v_fmac_f32_e32 v45, v52, v45
	v_mul_f32_e32 v52, v53, v45
	s_delay_alu instid0(VALU_DEP_1) | instskip(NEXT) | instid1(VALU_DEP_1)
	v_fma_f32 v54, -v44, v52, v53
	v_fmac_f32_e32 v52, v54, v45
	s_delay_alu instid0(VALU_DEP_1) | instskip(NEXT) | instid1(VALU_DEP_1)
	v_fma_f32 v44, -v44, v52, v53
	v_div_fmas_f32 v44, v44, v45, v52
	s_delay_alu instid0(VALU_DEP_1) | instskip(NEXT) | instid1(VALU_DEP_1)
	v_div_fixup_f32 v51, v44, s9, v51
	v_bfe_u32 v44, v51, 16, 1
	v_cmp_o_f32_e32 vcc_lo, v51, v51
	s_delay_alu instid0(VALU_DEP_2) | instskip(NEXT) | instid1(VALU_DEP_1)
	v_add3_u32 v44, v51, v44, 0x7fff
	v_and_b32_e32 v44, 0xffff0000, v44
	s_delay_alu instid0(VALU_DEP_1) | instskip(NEXT) | instid1(VALU_DEP_1)
	v_cndmask_b32_e32 v44, 0x7fc00000, v44, vcc_lo
	v_or_b32_e32 v39, v44, v39
.LBB3_32:                               ;   in Loop: Header=BB3_10 Depth=1
	v_cndmask_b32_e64 v5, v5, -v5, s28
	s_delay_alu instid0(VALU_DEP_1) | instskip(NEXT) | instid1(VALU_DEP_1)
	v_fma_mix_f32_bf16 v44, v47, v40, v5 op_sel_hi:[0,1,0]
	v_dual_cndmask_b32 v45, v5, v44, s4 :: v_dual_lshlrev_b32 v44, 16, v42
	s_delay_alu instid0(VALU_DEP_1) | instskip(NEXT) | instid1(VALU_DEP_1)
	v_pk_mul_f32 v[52:53], v[2:3], v[44:45]
	v_add_f32_e32 v5, v52, v53
	s_delay_alu instid0(VALU_DEP_1)
	v_cndmask_b32_e64 v5, v5, v45, s3
	s_and_saveexec_b32 s9, s5
	s_cbranch_execz .LBB3_34
; %bb.33:                               ;   in Loop: Header=BB3_10 Depth=1
	s_delay_alu instid0(VALU_DEP_1) | instskip(NEXT) | instid1(VALU_DEP_1)
	v_dual_fmac_f32 v45, v5, v2 :: v_dual_lshlrev_b32 v44, 16, v40
	v_cndmask_b32_e64 v45, v5, v45, s2
	s_delay_alu instid0(VALU_DEP_1) | instskip(NEXT) | instid1(VALU_DEP_1)
	v_fma_f32 v52, -v46, v45, v44
	v_bfe_u32 v44, v52, 16, 1
	v_cmp_o_f32_e32 vcc_lo, v52, v52
	s_delay_alu instid0(VALU_DEP_2) | instskip(NEXT) | instid1(VALU_DEP_1)
	v_add3_u32 v44, v52, v44, 0x7fff
	v_lshrrev_b32_e32 v53, 16, v44
	v_add_nc_u64_e32 v[44:45], s[20:21], v[8:9]
	s_delay_alu instid0(VALU_DEP_2)
	v_cndmask_b32_e32 v52, 0x7fc0, v53, vcc_lo
	global_store_b16 v[44:45], v52, off
.LBB3_34:                               ;   in Loop: Header=BB3_10 Depth=1
	s_wait_xcnt 0x0
	s_or_b32 exec_lo, exec_lo, s9
	v_cndmask_b32_e64 v44, v49, -v49, s28
	s_delay_alu instid0(VALU_DEP_1) | instskip(NEXT) | instid1(VALU_DEP_1)
	v_fma_mix_f32_bf16 v45, v47, v40, v44 op_sel:[0,1,0] op_sel_hi:[0,1,0]
	v_cndmask_b32_e64 v45, v44, v45, s4
	v_and_b32_e32 v44, 0xffff0000, v42
	s_delay_alu instid0(VALU_DEP_1) | instskip(NEXT) | instid1(VALU_DEP_1)
	v_pk_mul_f32 v[52:53], v[2:3], v[44:45]
	v_add_f32_e32 v44, v52, v53
	s_delay_alu instid0(VALU_DEP_1)
	v_cndmask_b32_e64 v49, v44, v45, s3
	s_and_saveexec_b32 s9, s6
	s_cbranch_execz .LBB3_36
; %bb.35:                               ;   in Loop: Header=BB3_10 Depth=1
	s_delay_alu instid0(VALU_DEP_1) | instskip(SKIP_1) | instid1(VALU_DEP_2)
	v_fmac_f32_e32 v45, v49, v2
	v_and_b32_e32 v44, 0xffff0000, v40
	v_cndmask_b32_e64 v45, v49, v45, s2
	s_delay_alu instid0(VALU_DEP_1) | instskip(NEXT) | instid1(VALU_DEP_1)
	v_fma_f32 v52, -v46, v45, v44
	v_bfe_u32 v44, v52, 16, 1
	v_cmp_o_f32_e32 vcc_lo, v52, v52
	s_delay_alu instid0(VALU_DEP_2) | instskip(NEXT) | instid1(VALU_DEP_1)
	v_add3_u32 v44, v52, v44, 0x7fff
	v_lshrrev_b32_e32 v53, 16, v44
	v_add_nc_u64_e32 v[44:45], s[20:21], v[32:33]
	s_delay_alu instid0(VALU_DEP_2)
	v_cndmask_b32_e32 v52, 0x7fc0, v53, vcc_lo
	global_store_b16 v[44:45], v52, off
.LBB3_36:                               ;   in Loop: Header=BB3_10 Depth=1
	s_wait_xcnt 0x0
	s_or_b32 exec_lo, exec_lo, s9
	v_alignbit_b32 v52, v41, v40, 16
	v_cndmask_b32_e64 v40, v50, -v50, s28
	v_alignbit_b32 v42, v43, v42, 16
	s_delay_alu instid0(VALU_DEP_2) | instskip(NEXT) | instid1(VALU_DEP_1)
	v_fma_mix_f32_bf16 v44, v47, v52, v40 op_sel:[0,1,0] op_sel_hi:[0,1,0]
	v_cndmask_b32_e64 v45, v40, v44, s4
	s_delay_alu instid0(VALU_DEP_3) | instskip(NEXT) | instid1(VALU_DEP_1)
	v_and_b32_e32 v44, 0xffff0000, v42
	v_pk_mul_f32 v[54:55], v[2:3], v[44:45]
	s_delay_alu instid0(VALU_DEP_1) | instskip(NEXT) | instid1(VALU_DEP_1)
	v_add_f32_e32 v40, v54, v55
	v_cndmask_b32_e64 v40, v40, v45, s3
	s_and_saveexec_b32 s9, s7
	s_cbranch_execz .LBB3_38
; %bb.37:                               ;   in Loop: Header=BB3_10 Depth=1
	v_and_b32_e32 v42, 0xffff0000, v52
	s_delay_alu instid0(VALU_DEP_2) | instskip(NEXT) | instid1(VALU_DEP_1)
	v_fmac_f32_e32 v45, v40, v2
	v_cndmask_b32_e64 v44, v40, v45, s2
	s_delay_alu instid0(VALU_DEP_1) | instskip(NEXT) | instid1(VALU_DEP_1)
	v_fma_f32 v42, -v46, v44, v42
	v_bfe_u32 v44, v42, 16, 1
	v_cmp_o_f32_e32 vcc_lo, v42, v42
	s_delay_alu instid0(VALU_DEP_2) | instskip(NEXT) | instid1(VALU_DEP_1)
	v_add3_u32 v44, v42, v44, 0x7fff
	v_lshrrev_b32_e32 v50, 16, v44
	v_add_nc_u64_e32 v[44:45], s[20:21], v[26:27]
	s_delay_alu instid0(VALU_DEP_2)
	v_cndmask_b32_e32 v42, 0x7fc0, v50, vcc_lo
	global_store_b16 v[44:45], v42, off
.LBB3_38:                               ;   in Loop: Header=BB3_10 Depth=1
	s_wait_xcnt 0x0
	s_or_b32 exec_lo, exec_lo, s9
	v_cndmask_b32_e64 v42, v51, -v51, s28
	s_delay_alu instid0(VALU_DEP_1) | instskip(NEXT) | instid1(VALU_DEP_1)
	v_fma_mix_f32_bf16 v44, v47, v41, v42 op_sel:[0,1,0] op_sel_hi:[0,1,0]
	v_cndmask_b32_e64 v45, v42, v44, s4
	v_and_b32_e32 v44, 0xffff0000, v43
	s_delay_alu instid0(VALU_DEP_1) | instskip(NEXT) | instid1(VALU_DEP_1)
	v_pk_mul_f32 v[42:43], v[2:3], v[44:45]
	v_add_f32_e32 v42, v42, v43
	s_delay_alu instid0(VALU_DEP_1)
	v_cndmask_b32_e64 v42, v42, v45, s3
	s_and_saveexec_b32 s9, s8
	s_cbranch_execz .LBB3_40
; %bb.39:                               ;   in Loop: Header=BB3_10 Depth=1
	s_delay_alu instid0(VALU_DEP_1) | instskip(SKIP_1) | instid1(VALU_DEP_2)
	v_fmac_f32_e32 v45, v42, v2
	v_and_b32_e32 v41, 0xffff0000, v41
	v_cndmask_b32_e64 v43, v42, v45, s2
	v_add_nc_u64_e32 v[44:45], s[20:21], v[20:21]
	s_delay_alu instid0(VALU_DEP_2) | instskip(NEXT) | instid1(VALU_DEP_1)
	v_fma_f32 v41, -v46, v43, v41
	v_bfe_u32 v43, v41, 16, 1
	v_cmp_o_f32_e32 vcc_lo, v41, v41
	s_delay_alu instid0(VALU_DEP_2) | instskip(NEXT) | instid1(VALU_DEP_1)
	v_add3_u32 v43, v41, v43, 0x7fff
	v_lshrrev_b32_e32 v43, 16, v43
	s_delay_alu instid0(VALU_DEP_1)
	v_cndmask_b32_e32 v41, 0x7fc0, v43, vcc_lo
	global_store_b16 v[44:45], v41, off
.LBB3_40:                               ;   in Loop: Header=BB3_10 Depth=1
	s_wait_xcnt 0x0
	s_or_b32 exec_lo, exec_lo, s9
	s_delay_alu instid0(SALU_CYCLE_1)
	s_and_not1_b32 vcc_lo, exec_lo, s29
	s_cbranch_vccnz .LBB3_47
; %bb.41:                               ;   in Loop: Header=BB3_10 Depth=1
	s_and_saveexec_b32 s9, s5
	s_cbranch_execnz .LBB3_57
; %bb.42:                               ;   in Loop: Header=BB3_10 Depth=1
	s_or_b32 exec_lo, exec_lo, s9
	s_and_saveexec_b32 s9, s6
	s_cbranch_execnz .LBB3_58
.LBB3_43:                               ;   in Loop: Header=BB3_10 Depth=1
	s_or_b32 exec_lo, exec_lo, s9
	s_and_saveexec_b32 s9, s7
	s_cbranch_execnz .LBB3_59
.LBB3_44:                               ;   in Loop: Header=BB3_10 Depth=1
	s_or_b32 exec_lo, exec_lo, s9
	s_and_saveexec_b32 s9, s8
	s_cbranch_execz .LBB3_46
.LBB3_45:                               ;   in Loop: Header=BB3_10 Depth=1
	v_add_nc_u64_e32 v[44:45], s[20:21], v[22:23]
	global_store_d16_hi_b16 v[44:45], v39, off
.LBB3_46:                               ;   in Loop: Header=BB3_10 Depth=1
	s_wait_xcnt 0x0
	s_or_b32 exec_lo, exec_lo, s9
.LBB3_47:                               ;   in Loop: Header=BB3_10 Depth=1
	s_and_saveexec_b32 s9, s5
	s_cbranch_execnz .LBB3_53
; %bb.48:                               ;   in Loop: Header=BB3_10 Depth=1
	s_or_b32 exec_lo, exec_lo, s9
	s_and_saveexec_b32 s5, s6
	s_cbranch_execnz .LBB3_54
.LBB3_49:                               ;   in Loop: Header=BB3_10 Depth=1
	s_or_b32 exec_lo, exec_lo, s5
	s_and_saveexec_b32 s5, s7
	s_cbranch_execnz .LBB3_55
.LBB3_50:                               ;   in Loop: Header=BB3_10 Depth=1
	s_or_b32 exec_lo, exec_lo, s5
	s_and_saveexec_b32 s5, s8
	s_cbranch_execz .LBB3_9
	s_branch .LBB3_56
.LBB3_51:                               ;   in Loop: Header=BB3_10 Depth=1
	v_add_nc_u64_e32 v[44:45], s[20:21], v[22:23]
	v_add_nc_u64_e32 v[50:51], s[20:21], v[20:21]
	global_load_u16 v5, v[44:45], off
	global_load_u16 v49, v[50:51], off
	s_wait_loadcnt 0x1
	v_lshlrev_b32_e32 v5, 16, v5
	s_wait_loadcnt 0x0
	s_wait_xcnt 0x1
	v_lshlrev_b32_e32 v44, 16, v49
	s_delay_alu instid0(VALU_DEP_2) | instskip(NEXT) | instid1(VALU_DEP_2)
	v_add_nc_u64_e32 v[38:39], v[4:5], v[38:39]
	v_or_b32_e32 v41, v44, v41
	s_wait_xcnt 0x0
	s_or_b32 exec_lo, exec_lo, s9
	s_and_saveexec_b32 s9, s8
	s_cbranch_execz .LBB3_24
.LBB3_52:                               ;   in Loop: Header=BB3_10 Depth=1
	v_add_nc_u64_e32 v[44:45], s[20:21], v[24:25]
	global_load_u16 v5, v[44:45], off
	s_wait_loadcnt 0x0
	v_lshlrev_b32_e32 v5, 16, v5
	s_delay_alu instid0(VALU_DEP_1)
	v_or_b32_e32 v43, v5, v43
	s_wait_xcnt 0x0
	s_or_b32 exec_lo, exec_lo, s9
	v_lshlrev_b32_e32 v5, 16, v38
	s_and_not1_b32 vcc_lo, exec_lo, s29
	s_cbranch_vccz .LBB3_25
	s_branch .LBB3_26
.LBB3_53:                               ;   in Loop: Header=BB3_10 Depth=1
	v_bfe_u32 v38, v5, 16, 1
	v_cmp_o_f32_e32 vcc_lo, v5, v5
	s_delay_alu instid0(VALU_DEP_2) | instskip(NEXT) | instid1(VALU_DEP_1)
	v_add3_u32 v38, v5, v38, 0x7fff
	v_lshrrev_b32_e32 v41, 16, v38
	v_add_nc_u64_e32 v[38:39], s[20:21], v[12:13]
	s_delay_alu instid0(VALU_DEP_2)
	v_cndmask_b32_e32 v5, 0x7fc0, v41, vcc_lo
	global_store_b16 v[38:39], v5, off
	s_wait_xcnt 0x0
	s_or_b32 exec_lo, exec_lo, s9
	s_and_saveexec_b32 s5, s6
	s_cbranch_execz .LBB3_49
.LBB3_54:                               ;   in Loop: Header=BB3_10 Depth=1
	v_bfe_u32 v5, v49, 16, 1
	v_cmp_o_f32_e32 vcc_lo, v49, v49
	v_add_nc_u64_e32 v[38:39], s[20:21], v[36:37]
	s_delay_alu instid0(VALU_DEP_3) | instskip(NEXT) | instid1(VALU_DEP_1)
	v_add3_u32 v5, v49, v5, 0x7fff
	v_lshrrev_b32_e32 v5, 16, v5
	s_delay_alu instid0(VALU_DEP_1)
	v_cndmask_b32_e32 v5, 0x7fc0, v5, vcc_lo
	global_store_b16 v[38:39], v5, off
	s_wait_xcnt 0x0
	s_or_b32 exec_lo, exec_lo, s5
	s_and_saveexec_b32 s5, s7
	s_cbranch_execz .LBB3_50
.LBB3_55:                               ;   in Loop: Header=BB3_10 Depth=1
	v_bfe_u32 v5, v40, 16, 1
	v_cmp_o_f32_e32 vcc_lo, v40, v40
	v_add_nc_u64_e32 v[38:39], s[20:21], v[30:31]
	s_delay_alu instid0(VALU_DEP_3) | instskip(NEXT) | instid1(VALU_DEP_1)
	v_add3_u32 v5, v40, v5, 0x7fff
	v_lshrrev_b32_e32 v5, 16, v5
	s_delay_alu instid0(VALU_DEP_1)
	v_cndmask_b32_e32 v5, 0x7fc0, v5, vcc_lo
	global_store_b16 v[38:39], v5, off
	s_wait_xcnt 0x0
	s_or_b32 exec_lo, exec_lo, s5
	s_and_saveexec_b32 s5, s8
	s_cbranch_execz .LBB3_9
.LBB3_56:                               ;   in Loop: Header=BB3_10 Depth=1
	v_bfe_u32 v5, v42, 16, 1
	v_cmp_o_f32_e32 vcc_lo, v42, v42
	v_add_nc_u64_e32 v[38:39], s[20:21], v[24:25]
	s_delay_alu instid0(VALU_DEP_3) | instskip(NEXT) | instid1(VALU_DEP_1)
	v_add3_u32 v5, v42, v5, 0x7fff
	v_lshrrev_b32_e32 v5, 16, v5
	s_delay_alu instid0(VALU_DEP_1)
	v_cndmask_b32_e32 v5, 0x7fc0, v5, vcc_lo
	global_store_b16 v[38:39], v5, off
	s_branch .LBB3_9
.LBB3_57:                               ;   in Loop: Header=BB3_10 Depth=1
	v_add_nc_u64_e32 v[44:45], s[20:21], v[10:11]
	global_store_b16 v[44:45], v38, off
	s_wait_xcnt 0x0
	s_or_b32 exec_lo, exec_lo, s9
	s_and_saveexec_b32 s9, s6
	s_cbranch_execz .LBB3_43
.LBB3_58:                               ;   in Loop: Header=BB3_10 Depth=1
	v_add_nc_u64_e32 v[44:45], s[20:21], v[34:35]
	global_store_d16_hi_b16 v[44:45], v38, off
	s_wait_xcnt 0x0
	s_or_b32 exec_lo, exec_lo, s9
	s_and_saveexec_b32 s9, s7
	s_cbranch_execz .LBB3_44
.LBB3_59:                               ;   in Loop: Header=BB3_10 Depth=1
	v_add_nc_u64_e32 v[44:45], s[20:21], v[28:29]
	global_store_b16 v[44:45], v39, off
	s_wait_xcnt 0x0
	s_or_b32 exec_lo, exec_lo, s9
	s_and_saveexec_b32 s9, s8
	s_cbranch_execnz .LBB3_45
	s_branch .LBB3_46
.LBB3_60:
	s_mov_b32 s6, 0
.LBB3_61:
	s_delay_alu instid0(SALU_CYCLE_1)
	s_and_not1_b32 vcc_lo, exec_lo, s6
	s_cbranch_vccnz .LBB3_75
; %bb.62:
	v_dual_mov_b32 v5, 0 :: v_dual_lshlrev_b32 v4, 2, v0
	s_mov_b32 s4, exec_lo
	s_delay_alu instid0(VALU_DEP_1)
	v_cmpx_gt_i64_e64 s[18:19], v[4:5]
	s_cbranch_execz .LBB3_75
; %bb.63:
	s_load_b32 s0, s[0:1], 0xc9c
	s_cmp_lg_u64 s[12:13], 0
	v_dual_mov_b32 v1, v5 :: v_dual_sub_f32 v3, 1.0, v48
	s_cselect_b32 s6, -1, 0
	s_mov_b32 s5, 0
	s_delay_alu instid0(SALU_CYCLE_1)
	s_mov_b32 s8, s5
	s_wait_kmcnt 0x0
	s_and_b32 s7, s0, 0xffff
	v_cmp_neq_f32_e64 s0, 0, v47
	v_add_lshl_u32 v4, v0, s7, 2
	v_add_nc_u32_e32 v18, s7, v0
	s_lshl_b32 s4, s7, 2
	s_delay_alu instid0(VALU_DEP_2)
	v_mov_b64_e32 v[6:7], v[4:5]
	v_mov_b32_e32 v4, v0
	s_branch .LBB3_65
.LBB3_64:                               ;   in Loop: Header=BB3_65 Depth=1
	s_wait_xcnt 0x0
	v_bfe_u32 v0, v20, 16, 1
	v_bfe_u32 v1, v19, 16, 1
	;; [unrolled: 1-line block ×3, first 2 shown]
	v_cmp_o_f32_e32 vcc_lo, v20, v20
	v_bfe_u32 v11, v16, 16, 1
	v_add3_u32 v0, v20, v0, 0x7fff
	v_add3_u32 v1, v19, v1, 0x7fff
	;; [unrolled: 1-line block ×3, first 2 shown]
	v_add_nc_u32_e32 v4, s7, v4
	v_add3_u32 v11, v16, v11, 0x7fff
	v_lshrrev_b32_e32 v0, 16, v0
	v_and_b32_e32 v1, 0xffff0000, v1
	v_lshrrev_b32_e32 v10, 16, v10
	v_cmp_lt_u32_e64 s1, 0x3fff, v18
	v_and_b32_e32 v11, 0xffff0000, v11
	v_cndmask_b32_e32 v0, 0x7fc0, v0, vcc_lo
	v_cmp_o_f32_e32 vcc_lo, v19, v19
	v_add_nc_u32_e32 v18, s7, v18
	v_cndmask_b32_e32 v1, 0x7fc00000, v1, vcc_lo
	v_cmp_o_f32_e32 vcc_lo, v17, v17
	s_delay_alu instid0(VALU_DEP_2)
	v_or_b32_e32 v0, v1, v0
	v_cndmask_b32_e32 v10, 0x7fc0, v10, vcc_lo
	v_cmp_o_f32_e32 vcc_lo, v16, v16
	v_cndmask_b32_e32 v11, 0x7fc00000, v11, vcc_lo
	v_cmp_le_u64_e32 vcc_lo, s[18:19], v[6:7]
	v_add_nc_u64_e32 v[6:7], s[4:5], v[6:7]
	s_delay_alu instid0(VALU_DEP_3) | instskip(SKIP_3) | instid1(SALU_CYCLE_1)
	v_or3_b32 v11, 0, v10, v11
	v_or3_b32 v10, v0, 0, 0
	v_mov_b64_e32 v[0:1], v[4:5]
	s_or_b32 s1, vcc_lo, s1
	s_and_b32 s1, exec_lo, s1
	global_store_b64 v[8:9], v[10:11], off
	s_or_b32 s8, s1, s8
	s_wait_xcnt 0x0
	s_and_not1_b32 exec_lo, exec_lo, s8
	s_cbranch_execz .LBB3_75
.LBB3_65:                               ; =>This Inner Loop Header: Depth=1
	v_lshlrev_b64_e32 v[8:9], 3, v[0:1]
	s_and_not1_b32 vcc_lo, exec_lo, s6
	s_delay_alu instid0(VALU_DEP_1)
	v_add_nc_u64_e32 v[0:1], s[16:17], v[8:9]
	v_add_nc_u64_e32 v[12:13], s[10:11], v[8:9]
	;; [unrolled: 1-line block ×3, first 2 shown]
	global_load_b64 v[10:11], v[0:1], off
	global_load_b64 v[14:15], v[12:13], off
	;; [unrolled: 1-line block ×3, first 2 shown]
	s_wait_loadcnt 0x2
	v_lshlrev_b32_e32 v19, 16, v10
	s_cbranch_vccnz .LBB3_67
; %bb.66:                               ;   in Loop: Header=BB3_65 Depth=1
	global_load_b32 v20, v5, s[12:13]
	v_and_b32_e32 v10, 0xffff0000, v10
	s_wait_loadcnt 0x0
	v_div_scale_f32 v21, null, v20, v20, v19
	v_div_scale_f32 v24, vcc_lo, v19, v20, v19
	s_delay_alu instid0(VALU_DEP_2) | instskip(SKIP_1) | instid1(TRANS32_DEP_1)
	v_rcp_f32_e32 v22, v21
	v_nop
	v_fma_f32 v23, -v21, v22, 1.0
	s_delay_alu instid0(VALU_DEP_1) | instskip(NEXT) | instid1(VALU_DEP_1)
	v_fmac_f32_e32 v22, v23, v22
	v_mul_f32_e32 v23, v24, v22
	s_delay_alu instid0(VALU_DEP_1) | instskip(NEXT) | instid1(VALU_DEP_1)
	v_fma_f32 v25, -v21, v23, v24
	v_fmac_f32_e32 v23, v25, v22
	s_delay_alu instid0(VALU_DEP_1) | instskip(NEXT) | instid1(VALU_DEP_1)
	v_fma_f32 v21, -v21, v23, v24
	v_div_fmas_f32 v21, v21, v22, v23
	s_delay_alu instid0(VALU_DEP_1) | instskip(NEXT) | instid1(VALU_DEP_1)
	v_div_fixup_f32 v19, v21, v20, v19
	v_bfe_u32 v20, v19, 16, 1
	v_cmp_o_f32_e32 vcc_lo, v19, v19
	s_delay_alu instid0(VALU_DEP_2) | instskip(NEXT) | instid1(VALU_DEP_1)
	v_add3_u32 v20, v19, v20, 0x7fff
	v_lshrrev_b32_e32 v20, 16, v20
	s_delay_alu instid0(VALU_DEP_1) | instskip(NEXT) | instid1(VALU_DEP_1)
	v_cndmask_b32_e32 v20, 0x7fc0, v20, vcc_lo
	v_or_b32_e32 v10, v20, v10
.LBB3_67:                               ;   in Loop: Header=BB3_65 Depth=1
	s_delay_alu instid0(VALU_DEP_1)
	v_and_b32_e32 v20, 0xffff0000, v10
	s_and_not1_b32 vcc_lo, exec_lo, s6
	s_cbranch_vccnz .LBB3_69
; %bb.68:                               ;   in Loop: Header=BB3_65 Depth=1
	global_load_b32 v21, v5, s[12:13]
	v_and_b32_e32 v10, 0xffff, v10
	s_wait_loadcnt 0x0
	v_div_scale_f32 v22, null, v21, v21, v20
	v_div_scale_f32 v25, vcc_lo, v20, v21, v20
	s_delay_alu instid0(VALU_DEP_2) | instskip(SKIP_1) | instid1(TRANS32_DEP_1)
	v_rcp_f32_e32 v23, v22
	v_nop
	v_fma_f32 v24, -v22, v23, 1.0
	s_delay_alu instid0(VALU_DEP_1) | instskip(NEXT) | instid1(VALU_DEP_1)
	v_fmac_f32_e32 v23, v24, v23
	v_mul_f32_e32 v24, v25, v23
	s_delay_alu instid0(VALU_DEP_1) | instskip(NEXT) | instid1(VALU_DEP_1)
	v_fma_f32 v26, -v22, v24, v25
	v_fmac_f32_e32 v24, v26, v23
	s_delay_alu instid0(VALU_DEP_1) | instskip(NEXT) | instid1(VALU_DEP_1)
	v_fma_f32 v22, -v22, v24, v25
	v_div_fmas_f32 v22, v22, v23, v24
	s_delay_alu instid0(VALU_DEP_1) | instskip(NEXT) | instid1(VALU_DEP_1)
	v_div_fixup_f32 v20, v22, v21, v20
	v_bfe_u32 v21, v20, 16, 1
	v_cmp_o_f32_e32 vcc_lo, v20, v20
	s_delay_alu instid0(VALU_DEP_2) | instskip(NEXT) | instid1(VALU_DEP_1)
	v_add3_u32 v21, v20, v21, 0x7fff
	v_and_b32_e32 v21, 0xffff0000, v21
	s_delay_alu instid0(VALU_DEP_1) | instskip(NEXT) | instid1(VALU_DEP_1)
	v_cndmask_b32_e32 v21, 0x7fc00000, v21, vcc_lo
	v_or_b32_e32 v10, v21, v10
.LBB3_69:                               ;   in Loop: Header=BB3_65 Depth=1
	s_delay_alu instid0(VALU_DEP_1) | instskip(SKIP_1) | instid1(VALU_DEP_1)
	v_alignbit_b32 v21, v11, v10, 16
	s_and_not1_b32 vcc_lo, exec_lo, s6
	v_and_b32_e32 v21, 0xffff0000, v21
	s_cbranch_vccnz .LBB3_71
; %bb.70:                               ;   in Loop: Header=BB3_65 Depth=1
	global_load_b32 v22, v5, s[12:13]
	v_and_b32_e32 v11, 0xffff0000, v11
	s_wait_loadcnt 0x0
	v_div_scale_f32 v23, null, v22, v22, v21
	v_div_scale_f32 v26, vcc_lo, v21, v22, v21
	s_delay_alu instid0(VALU_DEP_2) | instskip(SKIP_1) | instid1(TRANS32_DEP_1)
	v_rcp_f32_e32 v24, v23
	v_nop
	v_fma_f32 v25, -v23, v24, 1.0
	s_delay_alu instid0(VALU_DEP_1) | instskip(NEXT) | instid1(VALU_DEP_1)
	v_fmac_f32_e32 v24, v25, v24
	v_mul_f32_e32 v25, v26, v24
	s_delay_alu instid0(VALU_DEP_1) | instskip(NEXT) | instid1(VALU_DEP_1)
	v_fma_f32 v27, -v23, v25, v26
	v_fmac_f32_e32 v25, v27, v24
	s_delay_alu instid0(VALU_DEP_1) | instskip(NEXT) | instid1(VALU_DEP_1)
	v_fma_f32 v23, -v23, v25, v26
	v_div_fmas_f32 v23, v23, v24, v25
	s_delay_alu instid0(VALU_DEP_1) | instskip(NEXT) | instid1(VALU_DEP_1)
	v_div_fixup_f32 v21, v23, v22, v21
	v_bfe_u32 v22, v21, 16, 1
	v_cmp_o_f32_e32 vcc_lo, v21, v21
	s_delay_alu instid0(VALU_DEP_2) | instskip(NEXT) | instid1(VALU_DEP_1)
	v_add3_u32 v22, v21, v22, 0x7fff
	v_lshrrev_b32_e32 v22, 16, v22
	s_delay_alu instid0(VALU_DEP_1) | instskip(NEXT) | instid1(VALU_DEP_1)
	v_cndmask_b32_e32 v22, 0x7fc0, v22, vcc_lo
	v_or_b32_e32 v11, v22, v11
.LBB3_71:                               ;   in Loop: Header=BB3_65 Depth=1
	s_delay_alu instid0(VALU_DEP_1)
	v_and_b32_e32 v22, 0xffff0000, v11
	s_and_not1_b32 vcc_lo, exec_lo, s6
	s_cbranch_vccnz .LBB3_73
; %bb.72:                               ;   in Loop: Header=BB3_65 Depth=1
	global_load_b32 v23, v5, s[12:13]
	v_and_b32_e32 v11, 0xffff, v11
	s_wait_loadcnt 0x0
	v_div_scale_f32 v24, null, v23, v23, v22
	v_div_scale_f32 v27, vcc_lo, v22, v23, v22
	s_delay_alu instid0(VALU_DEP_2) | instskip(SKIP_1) | instid1(TRANS32_DEP_1)
	v_rcp_f32_e32 v25, v24
	v_nop
	v_fma_f32 v26, -v24, v25, 1.0
	s_delay_alu instid0(VALU_DEP_1) | instskip(NEXT) | instid1(VALU_DEP_1)
	v_fmac_f32_e32 v25, v26, v25
	v_mul_f32_e32 v26, v27, v25
	s_delay_alu instid0(VALU_DEP_1) | instskip(NEXT) | instid1(VALU_DEP_1)
	v_fma_f32 v28, -v24, v26, v27
	v_fmac_f32_e32 v26, v28, v25
	s_delay_alu instid0(VALU_DEP_1) | instskip(NEXT) | instid1(VALU_DEP_1)
	v_fma_f32 v24, -v24, v26, v27
	v_div_fmas_f32 v24, v24, v25, v26
	s_delay_alu instid0(VALU_DEP_1) | instskip(NEXT) | instid1(VALU_DEP_1)
	v_div_fixup_f32 v22, v24, v23, v22
	v_bfe_u32 v23, v22, 16, 1
	v_cmp_o_f32_e32 vcc_lo, v22, v22
	s_delay_alu instid0(VALU_DEP_2) | instskip(NEXT) | instid1(VALU_DEP_1)
	v_add3_u32 v23, v22, v23, 0x7fff
	v_and_b32_e32 v23, 0xffff0000, v23
	s_delay_alu instid0(VALU_DEP_1) | instskip(NEXT) | instid1(VALU_DEP_1)
	v_cndmask_b32_e32 v23, 0x7fc00000, v23, vcc_lo
	v_or_b32_e32 v11, v23, v11
.LBB3_73:                               ;   in Loop: Header=BB3_65 Depth=1
	s_wait_loadcnt 0x0
	v_dual_cndmask_b32 v19, v19, -v19, s28 :: v_dual_lshlrev_b32 v24, 16, v16
	v_dual_cndmask_b32 v20, v20, -v20, s28 :: v_dual_cndmask_b32 v23, v21, -v21, s28
	v_alignbit_b32 v34, v15, v14, 16
	s_delay_alu instid0(VALU_DEP_3) | instskip(SKIP_1) | instid1(VALU_DEP_4)
	v_fma_mix_f32_bf16 v21, v47, v14, v19 op_sel_hi:[0,1,0]
	v_cndmask_b32_e64 v26, v22, -v22, s28
	v_fma_mix_f32_bf16 v22, v47, v14, v20 op_sel:[0,1,0] op_sel_hi:[0,1,0]
	v_alignbit_b32 v27, v17, v16, 16
	v_fma_mix_f32_bf16 v28, v47, v34, v23 op_sel:[0,1,0] op_sel_hi:[0,1,0]
	v_cndmask_b32_e64 v25, v19, v21, s0
	v_fma_mix_f32_bf16 v19, v47, v15, v26 op_sel:[0,1,0] op_sel_hi:[0,1,0]
	v_cndmask_b32_e64 v21, v20, v22, s0
	v_and_b32_e32 v20, 0xffff0000, v16
	v_cndmask_b32_e64 v23, v23, v28, s0
	v_and_b32_e32 v22, 0xffff0000, v27
	;; [unrolled: 2-line block ×3, first 2 shown]
	v_pk_mul_f32 v[16:17], v[2:3], v[24:25]
	v_pk_mul_f32 v[28:29], v[2:3], v[20:21]
	;; [unrolled: 1-line block ×3, first 2 shown]
	s_delay_alu instid0(VALU_DEP_3) | instskip(SKIP_1) | instid1(VALU_DEP_3)
	v_add_f32_e32 v16, v16, v17
	v_pk_mul_f32 v[32:33], v[2:3], v[26:27]
	v_dual_add_f32 v17, v28, v29 :: v_dual_add_f32 v22, v30, v31
	s_delay_alu instid0(VALU_DEP_2) | instskip(NEXT) | instid1(VALU_DEP_2)
	v_add_f32_e32 v24, v32, v33
	v_cndmask_b32_e64 v19, v17, v21, s3
	s_delay_alu instid0(VALU_DEP_3) | instskip(NEXT) | instid1(VALU_DEP_2)
	v_dual_cndmask_b32 v20, v16, v25, s3 :: v_dual_cndmask_b32 v17, v22, v23, s3
	v_dual_cndmask_b32 v16, v24, v27, s3 :: v_dual_fmac_f32 v21, v19, v2
	s_delay_alu instid0(VALU_DEP_2) | instskip(NEXT) | instid1(VALU_DEP_2)
	v_dual_fmac_f32 v25, v20, v2 :: v_dual_fmac_f32 v23, v17, v2
	v_dual_fmac_f32 v27, v16, v2 :: v_dual_cndmask_b32 v21, v19, v21, s2
	s_delay_alu instid0(VALU_DEP_2) | instskip(NEXT) | instid1(VALU_DEP_1)
	v_dual_cndmask_b32 v22, v20, v25, s2 :: v_dual_cndmask_b32 v23, v17, v23, s2
	v_fma_mix_f32_bf16 v22, -v46, v22, v14 op_sel_hi:[0,0,1]
	s_delay_alu instid0(VALU_DEP_3) | instskip(NEXT) | instid1(VALU_DEP_3)
	v_fma_mix_f32_bf16 v14, -v46, v21, v14 op_sel:[0,0,1] op_sel_hi:[0,0,1]
	v_fma_mix_f32_bf16 v21, -v46, v23, v34 op_sel:[0,0,1] op_sel_hi:[0,0,1]
	s_delay_alu instid0(VALU_DEP_3) | instskip(SKIP_1) | instid1(VALU_DEP_3)
	v_bfe_u32 v23, v22, 16, 1
	v_cmp_o_f32_e32 vcc_lo, v22, v22
	v_bfe_u32 v25, v21, 16, 1
	s_delay_alu instid0(VALU_DEP_3) | instskip(NEXT) | instid1(VALU_DEP_2)
	v_add3_u32 v23, v22, v23, 0x7fff
	v_add3_u32 v25, v21, v25, 0x7fff
	s_delay_alu instid0(VALU_DEP_1) | instskip(NEXT) | instid1(VALU_DEP_1)
	v_dual_cndmask_b32 v24, v16, v27, s2 :: v_dual_lshrrev_b32 v25, 16, v25
	v_fma_mix_f32_bf16 v15, -v46, v24, v15 op_sel:[0,0,1] op_sel_hi:[0,0,1]
	v_bfe_u32 v24, v14, 16, 1
	s_delay_alu instid0(VALU_DEP_2) | instskip(NEXT) | instid1(VALU_DEP_2)
	v_bfe_u32 v26, v15, 16, 1
	v_add3_u32 v24, v14, v24, 0x7fff
	s_delay_alu instid0(VALU_DEP_2) | instskip(NEXT) | instid1(VALU_DEP_2)
	v_add3_u32 v26, v15, v26, 0x7fff
	v_and_b32_e32 v24, 0xffff0000, v24
	v_lshrrev_b32_e32 v23, 16, v23
	s_delay_alu instid0(VALU_DEP_3) | instskip(NEXT) | instid1(VALU_DEP_2)
	v_and_b32_e32 v26, 0xffff0000, v26
	v_cndmask_b32_e32 v22, 0x7fc0, v23, vcc_lo
	v_cmp_o_f32_e32 vcc_lo, v14, v14
	v_cndmask_b32_e32 v14, 0x7fc00000, v24, vcc_lo
	v_cmp_o_f32_e32 vcc_lo, v21, v21
	s_delay_alu instid0(VALU_DEP_2) | instskip(SKIP_2) | instid1(VALU_DEP_3)
	v_or_b32_e32 v14, v14, v22
	v_cndmask_b32_e32 v21, 0x7fc0, v25, vcc_lo
	v_cmp_o_f32_e32 vcc_lo, v15, v15
	v_or3_b32 v14, v14, 0, 0
	v_cndmask_b32_e32 v15, 0x7fc00000, v26, vcc_lo
	s_and_not1_b32 vcc_lo, exec_lo, s6
	s_delay_alu instid0(VALU_DEP_1)
	v_or3_b32 v15, 0, v21, v15
	global_store_b64 v[12:13], v[14:15], off
	s_cbranch_vccnz .LBB3_64
; %bb.74:                               ;   in Loop: Header=BB3_65 Depth=1
	global_store_b64 v[0:1], v[10:11], off
	s_branch .LBB3_64
.LBB3_75:
	s_endpgm
.LBB3_76:
                                        ; implicit-def: $sgpr2
	s_load_b32 s18, s[16:17], 0x740
	v_mov_b32_e32 v46, s2
	s_branch .LBB3_5
	.section	.rodata,"a",@progbits
	.p2align	6, 0x0
	.amdhsa_kernel _ZN2at6native12_GLOBAL__N_125multi_tensor_apply_kernelINS1_18TensorListMetadataILi3EEENS1_19FusedSgdMathFunctorIN3c108BFloat16ELi3EEEJddPfddbbbS9_S9_EEEvT_T0_DpT1_
		.amdhsa_group_segment_fixed_size 0
		.amdhsa_private_segment_fixed_size 0
		.amdhsa_kernarg_size 3472
		.amdhsa_user_sgpr_count 2
		.amdhsa_user_sgpr_dispatch_ptr 0
		.amdhsa_user_sgpr_queue_ptr 0
		.amdhsa_user_sgpr_kernarg_segment_ptr 1
		.amdhsa_user_sgpr_dispatch_id 0
		.amdhsa_user_sgpr_kernarg_preload_length 0
		.amdhsa_user_sgpr_kernarg_preload_offset 0
		.amdhsa_user_sgpr_private_segment_size 0
		.amdhsa_wavefront_size32 1
		.amdhsa_uses_dynamic_stack 0
		.amdhsa_enable_private_segment 0
		.amdhsa_system_sgpr_workgroup_id_x 1
		.amdhsa_system_sgpr_workgroup_id_y 0
		.amdhsa_system_sgpr_workgroup_id_z 0
		.amdhsa_system_sgpr_workgroup_info 0
		.amdhsa_system_vgpr_workitem_id 0
		.amdhsa_next_free_vgpr 56
		.amdhsa_next_free_sgpr 32
		.amdhsa_named_barrier_count 0
		.amdhsa_reserve_vcc 1
		.amdhsa_float_round_mode_32 0
		.amdhsa_float_round_mode_16_64 0
		.amdhsa_float_denorm_mode_32 3
		.amdhsa_float_denorm_mode_16_64 3
		.amdhsa_fp16_overflow 0
		.amdhsa_memory_ordered 1
		.amdhsa_forward_progress 1
		.amdhsa_inst_pref_size 40
		.amdhsa_round_robin_scheduling 0
		.amdhsa_exception_fp_ieee_invalid_op 0
		.amdhsa_exception_fp_denorm_src 0
		.amdhsa_exception_fp_ieee_div_zero 0
		.amdhsa_exception_fp_ieee_overflow 0
		.amdhsa_exception_fp_ieee_underflow 0
		.amdhsa_exception_fp_ieee_inexact 0
		.amdhsa_exception_int_div_zero 0
	.end_amdhsa_kernel
	.section	.text._ZN2at6native12_GLOBAL__N_125multi_tensor_apply_kernelINS1_18TensorListMetadataILi3EEENS1_19FusedSgdMathFunctorIN3c108BFloat16ELi3EEEJddPfddbbbS9_S9_EEEvT_T0_DpT1_,"axG",@progbits,_ZN2at6native12_GLOBAL__N_125multi_tensor_apply_kernelINS1_18TensorListMetadataILi3EEENS1_19FusedSgdMathFunctorIN3c108BFloat16ELi3EEEJddPfddbbbS9_S9_EEEvT_T0_DpT1_,comdat
.Lfunc_end3:
	.size	_ZN2at6native12_GLOBAL__N_125multi_tensor_apply_kernelINS1_18TensorListMetadataILi3EEENS1_19FusedSgdMathFunctorIN3c108BFloat16ELi3EEEJddPfddbbbS9_S9_EEEvT_T0_DpT1_, .Lfunc_end3-_ZN2at6native12_GLOBAL__N_125multi_tensor_apply_kernelINS1_18TensorListMetadataILi3EEENS1_19FusedSgdMathFunctorIN3c108BFloat16ELi3EEEJddPfddbbbS9_S9_EEEvT_T0_DpT1_
                                        ; -- End function
	.set _ZN2at6native12_GLOBAL__N_125multi_tensor_apply_kernelINS1_18TensorListMetadataILi3EEENS1_19FusedSgdMathFunctorIN3c108BFloat16ELi3EEEJddPfddbbbS9_S9_EEEvT_T0_DpT1_.num_vgpr, 56
	.set _ZN2at6native12_GLOBAL__N_125multi_tensor_apply_kernelINS1_18TensorListMetadataILi3EEENS1_19FusedSgdMathFunctorIN3c108BFloat16ELi3EEEJddPfddbbbS9_S9_EEEvT_T0_DpT1_.num_agpr, 0
	.set _ZN2at6native12_GLOBAL__N_125multi_tensor_apply_kernelINS1_18TensorListMetadataILi3EEENS1_19FusedSgdMathFunctorIN3c108BFloat16ELi3EEEJddPfddbbbS9_S9_EEEvT_T0_DpT1_.numbered_sgpr, 32
	.set _ZN2at6native12_GLOBAL__N_125multi_tensor_apply_kernelINS1_18TensorListMetadataILi3EEENS1_19FusedSgdMathFunctorIN3c108BFloat16ELi3EEEJddPfddbbbS9_S9_EEEvT_T0_DpT1_.num_named_barrier, 0
	.set _ZN2at6native12_GLOBAL__N_125multi_tensor_apply_kernelINS1_18TensorListMetadataILi3EEENS1_19FusedSgdMathFunctorIN3c108BFloat16ELi3EEEJddPfddbbbS9_S9_EEEvT_T0_DpT1_.private_seg_size, 0
	.set _ZN2at6native12_GLOBAL__N_125multi_tensor_apply_kernelINS1_18TensorListMetadataILi3EEENS1_19FusedSgdMathFunctorIN3c108BFloat16ELi3EEEJddPfddbbbS9_S9_EEEvT_T0_DpT1_.uses_vcc, 1
	.set _ZN2at6native12_GLOBAL__N_125multi_tensor_apply_kernelINS1_18TensorListMetadataILi3EEENS1_19FusedSgdMathFunctorIN3c108BFloat16ELi3EEEJddPfddbbbS9_S9_EEEvT_T0_DpT1_.uses_flat_scratch, 0
	.set _ZN2at6native12_GLOBAL__N_125multi_tensor_apply_kernelINS1_18TensorListMetadataILi3EEENS1_19FusedSgdMathFunctorIN3c108BFloat16ELi3EEEJddPfddbbbS9_S9_EEEvT_T0_DpT1_.has_dyn_sized_stack, 0
	.set _ZN2at6native12_GLOBAL__N_125multi_tensor_apply_kernelINS1_18TensorListMetadataILi3EEENS1_19FusedSgdMathFunctorIN3c108BFloat16ELi3EEEJddPfddbbbS9_S9_EEEvT_T0_DpT1_.has_recursion, 0
	.set _ZN2at6native12_GLOBAL__N_125multi_tensor_apply_kernelINS1_18TensorListMetadataILi3EEENS1_19FusedSgdMathFunctorIN3c108BFloat16ELi3EEEJddPfddbbbS9_S9_EEEvT_T0_DpT1_.has_indirect_call, 0
	.section	.AMDGPU.csdata,"",@progbits
; Kernel info:
; codeLenInByte = 5056
; TotalNumSgprs: 34
; NumVgprs: 56
; ScratchSize: 0
; MemoryBound: 0
; FloatMode: 240
; IeeeMode: 1
; LDSByteSize: 0 bytes/workgroup (compile time only)
; SGPRBlocks: 0
; VGPRBlocks: 3
; NumSGPRsForWavesPerEU: 34
; NumVGPRsForWavesPerEU: 56
; NamedBarCnt: 0
; Occupancy: 16
; WaveLimiterHint : 0
; COMPUTE_PGM_RSRC2:SCRATCH_EN: 0
; COMPUTE_PGM_RSRC2:USER_SGPR: 2
; COMPUTE_PGM_RSRC2:TRAP_HANDLER: 0
; COMPUTE_PGM_RSRC2:TGID_X_EN: 1
; COMPUTE_PGM_RSRC2:TGID_Y_EN: 0
; COMPUTE_PGM_RSRC2:TGID_Z_EN: 0
; COMPUTE_PGM_RSRC2:TIDIG_COMP_CNT: 0
	.section	.text._ZN2at6native12_GLOBAL__N_125multi_tensor_apply_kernelINS1_18TensorListMetadataILi2EEENS1_19FusedSgdMathFunctorIdLi2EEEJddPfddbbbS7_S7_EEEvT_T0_DpT1_,"axG",@progbits,_ZN2at6native12_GLOBAL__N_125multi_tensor_apply_kernelINS1_18TensorListMetadataILi2EEENS1_19FusedSgdMathFunctorIdLi2EEEJddPfddbbbS7_S7_EEEvT_T0_DpT1_,comdat
	.globl	_ZN2at6native12_GLOBAL__N_125multi_tensor_apply_kernelINS1_18TensorListMetadataILi2EEENS1_19FusedSgdMathFunctorIdLi2EEEJddPfddbbbS7_S7_EEEvT_T0_DpT1_ ; -- Begin function _ZN2at6native12_GLOBAL__N_125multi_tensor_apply_kernelINS1_18TensorListMetadataILi2EEENS1_19FusedSgdMathFunctorIdLi2EEEJddPfddbbbS7_S7_EEEvT_T0_DpT1_
	.p2align	8
	.type	_ZN2at6native12_GLOBAL__N_125multi_tensor_apply_kernelINS1_18TensorListMetadataILi2EEENS1_19FusedSgdMathFunctorIdLi2EEEJddPfddbbbS7_S7_EEEvT_T0_DpT1_,@function
_ZN2at6native12_GLOBAL__N_125multi_tensor_apply_kernelINS1_18TensorListMetadataILi2EEENS1_19FusedSgdMathFunctorIdLi2EEEJddPfddbbbS7_S7_EEEvT_T0_DpT1_: ; @_ZN2at6native12_GLOBAL__N_125multi_tensor_apply_kernelINS1_18TensorListMetadataILi2EEENS1_19FusedSgdMathFunctorIdLi2EEEJddPfddbbbS7_S7_EEEvT_T0_DpT1_
; %bb.0:
	s_load_b128 s[8:11], s[0:1], 0xc80
	s_wait_kmcnt 0x0
	s_cmp_eq_u64 s[10:11], 0
	s_cselect_b32 s2, -1, 0
	s_delay_alu instid0(SALU_CYCLE_1)
	s_and_b32 vcc_lo, exec_lo, s2
	s_cbranch_vccnz .LBB4_2
; %bb.1:
	s_load_b32 s2, s[10:11], 0x0
	s_wait_kmcnt 0x0
	s_cmp_neq_f32 s2, 1.0
	s_cselect_b32 s2, -1, 0
.LBB4_2:
	s_delay_alu instid0(SALU_CYCLE_1)
	s_and_not1_b32 vcc_lo, exec_lo, s2
	s_cbranch_vccnz .LBB4_58
; %bb.3:
	s_bfe_u32 s2, ttmp6, 0x4000c
	s_and_b32 s3, ttmp6, 15
	s_add_co_i32 s2, s2, 1
	s_getreg_b32 s4, hwreg(HW_REG_IB_STS2, 6, 4)
	s_mul_i32 s2, ttmp9, s2
	s_mov_b32 s17, 0
	s_add_co_i32 s3, s3, s2
	s_cmp_eq_u32 s4, 0
	s_load_b128 s[4:7], s[0:1], 0xc60
	s_cselect_b32 s16, ttmp9, s3
	s_delay_alu instid0(SALU_CYCLE_1) | instskip(SKIP_2) | instid1(SALU_CYCLE_1)
	v_mov_b32_e32 v1, s16
	s_add_nc_u64 s[2:3], s[0:1], s[16:17]
	s_mul_u64 s[10:11], s[16:17], 3
	s_add_nc_u64 s[2:3], s[2:3], s[10:11]
	global_load_u8 v1, v1, s[0:1] offset:1536
	s_load_b32 s20, s[2:3], 0x740
	s_wait_kmcnt 0x0
	v_mov_b64_e32 v[20:21], s[6:7]
	s_cmp_eq_u64 s[4:5], 0
	s_wait_loadcnt 0x0
	v_readfirstlane_b32 s3, v1
	s_cbranch_scc1 .LBB4_5
; %bb.4:
	s_load_b32 s2, s[4:5], 0x0
	s_wait_kmcnt 0x0
	v_cvt_f64_f32_e32 v[20:21], s2
.LBB4_5:
	s_load_b32 s2, s[0:1], 0xc78
	s_wait_kmcnt 0x0
	s_bitcmp1_b32 s2, 8
	s_cselect_b32 s2, -1, 0
	s_and_b32 s3, s3, 0xff
	s_clause 0x3
	s_load_b64 s[4:5], s[0:1], s3 offset:0x200 scale_offset
	s_load_b64 s[6:7], s[0:1], s3 offset:0x0 scale_offset
	;; [unrolled: 1-line block ×3, first 2 shown]
	s_load_b64 s[10:11], s[0:1], 0xc50
	s_ashr_i32 s21, s20, 31
	s_wait_xcnt 0x0
	s_mov_b32 s3, -1
	s_lshl_b64 s[18:19], s[20:21], 19
	s_lshl_b64 s[20:21], s[20:21], 16
	s_wait_kmcnt 0x0
	s_add_nc_u64 s[12:13], s[4:5], s[18:19]
	s_add_nc_u64 s[14:15], s[6:7], s[18:19]
	s_and_b32 s16, s12, 31
	s_and_b64 s[24:25], s[22:23], 3
	s_and_b64 s[26:27], s[14:15], 31
	s_or_b64 s[16:17], s[24:25], s[16:17]
	s_delay_alu instid0(SALU_CYCLE_1)
	s_or_b64 s[24:25], s[16:17], s[26:27]
	s_sub_nc_u64 s[16:17], s[22:23], s[20:21]
	s_cmp_eq_u64 s[24:25], 0
	s_cbranch_scc1 .LBB4_44
; %bb.6:
	v_cmp_lt_i64_e64 s3, s[16:17], 1
	s_and_b32 vcc_lo, exec_lo, s3
	s_cbranch_vccnz .LBB4_43
; %bb.7:
	s_load_b32 s20, s[0:1], 0xc9c
	v_min_i64 v[2:3], 0x10000, s[16:17]
	v_cmp_neq_f64_e64 s3, s[10:11], 0
	v_dual_mov_b32 v1, 0 :: v_dual_lshlrev_b32 v8, 3, v0
	s_mov_b32 s25, 0
	s_delay_alu instid0(SALU_CYCLE_1) | instskip(NEXT) | instid1(VALU_DEP_1)
	s_mov_b32 s29, s25
	v_dual_mov_b32 v9, v1 :: v_dual_mov_b32 v27, v1
	s_mov_b32 s21, s25
	s_mov_b32 s23, s25
	s_delay_alu instid0(VALU_DEP_1) | instskip(SKIP_2) | instid1(SALU_CYCLE_1)
	v_add_nc_u64_e32 v[4:5], s[6:7], v[8:9]
	s_wait_kmcnt 0x0
	s_and_b32 s24, s20, 0xffff
	s_lshl_b32 s20, s24, 1
	v_add_nc_u64_e32 v[6:7], s[24:25], v[0:1]
	v_mad_nc_u64_u32 v[16:17], s24, 24, v[8:9]
	s_cmp_lg_u64 s[8:9], 0
	s_mul_i32 s22, s24, 3
	s_cselect_b32 s26, -1, 0
	s_lshl_b32 s28, s24, 4
	v_add_nc_u64_e32 v[10:11], s[22:23], v[0:1]
	v_add_nc_u64_e32 v[22:23], s[28:29], v[8:9]
	v_lshlrev_b32_e32 v26, 3, v6
	v_add_nc_u64_e32 v[8:9], s[4:5], v[8:9]
	v_add_nc_u64_e32 v[12:13], s[20:21], v[0:1]
	s_mov_b64 s[20:21], 0
	v_add_nc_u64_e32 v[14:15], s[6:7], v[16:17]
	v_add_nc_u64_e32 v[16:17], s[4:5], v[16:17]
	;; [unrolled: 1-line block ×6, first 2 shown]
	s_lshl_b32 s22, s24, 2
	s_lshl_b32 s24, s24, 5
	s_branch .LBB4_10
.LBB4_8:                                ;   in Loop: Header=BB4_10 Depth=1
	s_wait_xcnt 0x0
	s_or_b32 exec_lo, exec_lo, s4
.LBB4_9:                                ;   in Loop: Header=BB4_10 Depth=1
	s_add_nc_u64 s[20:21], s[20:21], s[22:23]
	v_add_nc_u64_e32 v[4:5], s[24:25], v[4:5]
	v_cmp_lt_i64_e32 vcc_lo, s[20:21], v[2:3]
	v_add_nc_u64_e32 v[8:9], s[24:25], v[8:9]
	v_add_nc_u64_e32 v[14:15], s[24:25], v[14:15]
	;; [unrolled: 1-line block ×7, first 2 shown]
	s_cbranch_vccz .LBB4_43
.LBB4_10:                               ; =>This Inner Loop Header: Depth=1
	s_wait_loadcnt 0x0
	v_add_nc_u64_e32 v[32:33], s[20:21], v[0:1]
	v_mov_b64_e32 v[28:29], 0
	v_mov_b64_e32 v[30:31], 0
	;; [unrolled: 1-line block ×3, first 2 shown]
	s_delay_alu instid0(VALU_DEP_4)
	v_cmp_lt_i64_e64 s4, v[32:33], v[2:3]
	s_and_saveexec_b32 s5, s4
	s_cbranch_execz .LBB4_12
; %bb.11:                               ;   in Loop: Header=BB4_10 Depth=1
	v_add_nc_u64_e32 v[32:33], s[18:19], v[4:5]
	v_add_nc_u64_e32 v[34:35], s[18:19], v[8:9]
	global_load_b64 v[36:37], v[32:33], off
	global_load_b64 v[30:31], v[34:35], off
.LBB4_12:                               ;   in Loop: Header=BB4_10 Depth=1
	s_wait_xcnt 0x0
	s_or_b32 exec_lo, exec_lo, s5
	v_add_nc_u64_e32 v[32:33], s[20:21], v[6:7]
	v_mov_b64_e32 v[38:39], 0
	s_delay_alu instid0(VALU_DEP_2)
	v_cmp_lt_i64_e64 s5, v[32:33], v[2:3]
	s_and_saveexec_b32 s6, s5
	s_cbranch_execz .LBB4_14
; %bb.13:                               ;   in Loop: Header=BB4_10 Depth=1
	v_add_nc_u64_e32 v[32:33], s[18:19], v[24:25]
	v_add_nc_u64_e32 v[34:35], s[18:19], v[26:27]
	global_load_b64 v[38:39], v[32:33], off
	global_load_b64 v[28:29], v[34:35], off
.LBB4_14:                               ;   in Loop: Header=BB4_10 Depth=1
	s_wait_xcnt 0x0
	s_or_b32 exec_lo, exec_lo, s6
	v_add_nc_u64_e32 v[40:41], s[20:21], v[12:13]
	v_mov_b64_e32 v[32:33], 0
	v_mov_b64_e32 v[34:35], 0
	s_delay_alu instid0(VALU_DEP_3)
	v_cmp_lt_i64_e64 s6, v[40:41], v[2:3]
	v_mov_b64_e32 v[40:41], 0
	s_and_saveexec_b32 s7, s6
	s_cbranch_execz .LBB4_16
; %bb.15:                               ;   in Loop: Header=BB4_10 Depth=1
	v_add_nc_u64_e32 v[42:43], s[18:19], v[18:19]
	v_add_nc_u64_e32 v[44:45], s[18:19], v[22:23]
	global_load_b64 v[40:41], v[42:43], off
	global_load_b64 v[34:35], v[44:45], off
.LBB4_16:                               ;   in Loop: Header=BB4_10 Depth=1
	s_wait_xcnt 0x0
	s_or_b32 exec_lo, exec_lo, s7
	v_add_nc_u64_e32 v[42:43], s[20:21], v[10:11]
	s_delay_alu instid0(VALU_DEP_1)
	v_cmp_lt_i64_e64 s7, v[42:43], v[2:3]
	v_mov_b64_e32 v[42:43], 0
	s_and_saveexec_b32 s27, s7
	s_cbranch_execz .LBB4_18
; %bb.17:                               ;   in Loop: Header=BB4_10 Depth=1
	v_add_nc_u64_e32 v[44:45], s[18:19], v[14:15]
	v_add_nc_u64_e32 v[46:47], s[18:19], v[16:17]
	global_load_b64 v[42:43], v[44:45], off
	global_load_b64 v[32:33], v[46:47], off
.LBB4_18:                               ;   in Loop: Header=BB4_10 Depth=1
	s_wait_xcnt 0x0
	s_or_b32 exec_lo, exec_lo, s27
	s_delay_alu instid0(SALU_CYCLE_1)
	s_and_not1_b32 vcc_lo, exec_lo, s26
	s_cbranch_vccnz .LBB4_20
; %bb.19:                               ;   in Loop: Header=BB4_10 Depth=1
	s_load_b32 s27, s[8:9], 0x0
	s_wait_kmcnt 0x0
	v_cvt_f64_f32_e32 v[44:45], s27
	s_wait_loadcnt 0x0
	s_delay_alu instid0(VALU_DEP_1) | instskip(NEXT) | instid1(VALU_DEP_1)
	v_div_scale_f64 v[46:47], null, v[44:45], v[44:45], v[30:31]
	v_rcp_f64_e32 v[48:49], v[46:47]
	v_nop
	s_delay_alu instid0(TRANS32_DEP_1) | instskip(NEXT) | instid1(VALU_DEP_1)
	v_fma_f64 v[50:51], -v[46:47], v[48:49], 1.0
	v_fmac_f64_e32 v[48:49], v[48:49], v[50:51]
	s_delay_alu instid0(VALU_DEP_1) | instskip(NEXT) | instid1(VALU_DEP_1)
	v_fma_f64 v[50:51], -v[46:47], v[48:49], 1.0
	v_fmac_f64_e32 v[48:49], v[48:49], v[50:51]
	v_div_scale_f64 v[50:51], vcc_lo, v[30:31], v[44:45], v[30:31]
	s_delay_alu instid0(VALU_DEP_1) | instskip(NEXT) | instid1(VALU_DEP_1)
	v_mul_f64_e32 v[52:53], v[50:51], v[48:49]
	v_fma_f64 v[46:47], -v[46:47], v[52:53], v[50:51]
	s_delay_alu instid0(VALU_DEP_1) | instskip(NEXT) | instid1(VALU_DEP_1)
	v_div_fmas_f64 v[46:47], v[46:47], v[48:49], v[52:53]
	v_div_fixup_f64 v[30:31], v[46:47], v[44:45], v[30:31]
.LBB4_20:                               ;   in Loop: Header=BB4_10 Depth=1
	s_and_not1_b32 vcc_lo, exec_lo, s26
	s_cbranch_vccnz .LBB4_22
; %bb.21:                               ;   in Loop: Header=BB4_10 Depth=1
	s_load_b32 s27, s[8:9], 0x0
	s_wait_kmcnt 0x0
	v_cvt_f64_f32_e32 v[44:45], s27
	s_wait_loadcnt 0x0
	s_delay_alu instid0(VALU_DEP_1) | instskip(NEXT) | instid1(VALU_DEP_1)
	v_div_scale_f64 v[46:47], null, v[44:45], v[44:45], v[28:29]
	v_rcp_f64_e32 v[48:49], v[46:47]
	v_nop
	s_delay_alu instid0(TRANS32_DEP_1) | instskip(NEXT) | instid1(VALU_DEP_1)
	v_fma_f64 v[50:51], -v[46:47], v[48:49], 1.0
	v_fmac_f64_e32 v[48:49], v[48:49], v[50:51]
	s_delay_alu instid0(VALU_DEP_1) | instskip(NEXT) | instid1(VALU_DEP_1)
	v_fma_f64 v[50:51], -v[46:47], v[48:49], 1.0
	v_fmac_f64_e32 v[48:49], v[48:49], v[50:51]
	v_div_scale_f64 v[50:51], vcc_lo, v[28:29], v[44:45], v[28:29]
	s_delay_alu instid0(VALU_DEP_1) | instskip(NEXT) | instid1(VALU_DEP_1)
	v_mul_f64_e32 v[52:53], v[50:51], v[48:49]
	v_fma_f64 v[46:47], -v[46:47], v[52:53], v[50:51]
	s_delay_alu instid0(VALU_DEP_1) | instskip(NEXT) | instid1(VALU_DEP_1)
	v_div_fmas_f64 v[46:47], v[46:47], v[48:49], v[52:53]
	v_div_fixup_f64 v[28:29], v[46:47], v[44:45], v[28:29]
.LBB4_22:                               ;   in Loop: Header=BB4_10 Depth=1
	;; [unrolled: 25-line block ×4, first 2 shown]
	s_and_saveexec_b32 s27, s4
	s_cbranch_execnz .LBB4_31
; %bb.27:                               ;   in Loop: Header=BB4_10 Depth=1
	s_or_b32 exec_lo, exec_lo, s27
	s_and_saveexec_b32 s27, s5
	s_cbranch_execnz .LBB4_32
.LBB4_28:                               ;   in Loop: Header=BB4_10 Depth=1
	s_or_b32 exec_lo, exec_lo, s27
	s_and_saveexec_b32 s27, s6
	s_cbranch_execnz .LBB4_33
.LBB4_29:                               ;   in Loop: Header=BB4_10 Depth=1
	s_or_b32 exec_lo, exec_lo, s27
	s_and_saveexec_b32 s27, s7
	s_cbranch_execnz .LBB4_34
.LBB4_30:                               ;   in Loop: Header=BB4_10 Depth=1
	s_or_b32 exec_lo, exec_lo, s27
	s_delay_alu instid0(SALU_CYCLE_1)
	s_and_not1_b32 vcc_lo, exec_lo, s26
	s_cbranch_vccz .LBB4_35
	s_branch .LBB4_9
.LBB4_31:                               ;   in Loop: Header=BB4_10 Depth=1
	s_wait_loadcnt 0x0
	s_delay_alu instid0(VALU_DEP_1) | instskip(NEXT) | instid1(VALU_DEP_1)
	v_xor_b32_e32 v45, 0x80000000, v31
	v_dual_mov_b32 v44, v30 :: v_dual_cndmask_b32 v45, v31, v45, s2
	s_delay_alu instid0(VALU_DEP_1) | instskip(NEXT) | instid1(VALU_DEP_1)
	v_mov_b64_e32 v[46:47], v[44:45]
	v_fmac_f64_e32 v[46:47], s[10:11], v[36:37]
	s_delay_alu instid0(VALU_DEP_1) | instskip(NEXT) | instid1(VALU_DEP_1)
	v_dual_cndmask_b32 v45, v45, v47, s3 :: v_dual_cndmask_b32 v44, v30, v46, s3
	v_fma_f64 v[36:37], -v[20:21], v[44:45], v[36:37]
	v_add_nc_u64_e32 v[44:45], s[18:19], v[4:5]
	global_store_b64 v[44:45], v[36:37], off
	s_wait_xcnt 0x0
	s_or_b32 exec_lo, exec_lo, s27
	s_and_saveexec_b32 s27, s5
	s_cbranch_execz .LBB4_28
.LBB4_32:                               ;   in Loop: Header=BB4_10 Depth=1
	s_wait_loadcnt 0x0
	s_delay_alu instid0(VALU_DEP_1) | instskip(NEXT) | instid1(VALU_DEP_1)
	v_xor_b32_e32 v37, 0x80000000, v29
	v_dual_mov_b32 v36, v28 :: v_dual_cndmask_b32 v37, v29, v37, s2
	s_delay_alu instid0(VALU_DEP_1) | instskip(NEXT) | instid1(VALU_DEP_1)
	v_mov_b64_e32 v[44:45], v[36:37]
	v_fmac_f64_e32 v[44:45], s[10:11], v[38:39]
	s_delay_alu instid0(VALU_DEP_1) | instskip(NEXT) | instid1(VALU_DEP_1)
	v_dual_cndmask_b32 v37, v37, v45, s3 :: v_dual_cndmask_b32 v36, v28, v44, s3
	v_fma_f64 v[36:37], -v[20:21], v[36:37], v[38:39]
	v_add_nc_u64_e32 v[38:39], s[18:19], v[24:25]
	global_store_b64 v[38:39], v[36:37], off
	s_wait_xcnt 0x0
	s_or_b32 exec_lo, exec_lo, s27
	s_and_saveexec_b32 s27, s6
	s_cbranch_execz .LBB4_29
.LBB4_33:                               ;   in Loop: Header=BB4_10 Depth=1
	s_wait_loadcnt 0x0
	s_delay_alu instid0(VALU_DEP_1) | instskip(NEXT) | instid1(VALU_DEP_1)
	v_xor_b32_e32 v37, 0x80000000, v35
	v_dual_mov_b32 v36, v34 :: v_dual_cndmask_b32 v37, v35, v37, s2
	s_delay_alu instid0(VALU_DEP_1) | instskip(NEXT) | instid1(VALU_DEP_1)
	v_mov_b64_e32 v[38:39], v[36:37]
	v_fmac_f64_e32 v[38:39], s[10:11], v[40:41]
	s_delay_alu instid0(VALU_DEP_1) | instskip(SKIP_1) | instid1(VALU_DEP_2)
	v_dual_cndmask_b32 v37, v37, v39, s3 :: v_dual_cndmask_b32 v36, v34, v38, s3
	v_add_nc_u64_e32 v[38:39], s[18:19], v[18:19]
	v_fma_f64 v[36:37], -v[20:21], v[36:37], v[40:41]
	global_store_b64 v[38:39], v[36:37], off
	s_wait_xcnt 0x0
	s_or_b32 exec_lo, exec_lo, s27
	s_and_saveexec_b32 s27, s7
	s_cbranch_execz .LBB4_30
.LBB4_34:                               ;   in Loop: Header=BB4_10 Depth=1
	s_wait_loadcnt 0x0
	s_delay_alu instid0(VALU_DEP_1) | instskip(NEXT) | instid1(VALU_DEP_1)
	v_xor_b32_e32 v37, 0x80000000, v33
	v_dual_mov_b32 v36, v32 :: v_dual_cndmask_b32 v37, v33, v37, s2
	s_delay_alu instid0(VALU_DEP_1) | instskip(NEXT) | instid1(VALU_DEP_1)
	v_mov_b64_e32 v[38:39], v[36:37]
	v_fmac_f64_e32 v[38:39], s[10:11], v[42:43]
	s_delay_alu instid0(VALU_DEP_1) | instskip(SKIP_1) | instid1(VALU_DEP_2)
	v_dual_cndmask_b32 v37, v37, v39, s3 :: v_dual_cndmask_b32 v36, v32, v38, s3
	v_add_nc_u64_e32 v[38:39], s[18:19], v[14:15]
	v_fma_f64 v[36:37], -v[20:21], v[36:37], v[42:43]
	global_store_b64 v[38:39], v[36:37], off
	s_wait_xcnt 0x0
	s_or_b32 exec_lo, exec_lo, s27
	s_delay_alu instid0(SALU_CYCLE_1)
	s_and_not1_b32 vcc_lo, exec_lo, s26
	s_cbranch_vccnz .LBB4_9
.LBB4_35:                               ;   in Loop: Header=BB4_10 Depth=1
	s_and_saveexec_b32 s27, s4
	s_cbranch_execnz .LBB4_39
; %bb.36:                               ;   in Loop: Header=BB4_10 Depth=1
	s_or_b32 exec_lo, exec_lo, s27
	s_and_saveexec_b32 s4, s5
	s_cbranch_execnz .LBB4_40
.LBB4_37:                               ;   in Loop: Header=BB4_10 Depth=1
	s_or_b32 exec_lo, exec_lo, s4
	s_and_saveexec_b32 s4, s6
	s_cbranch_execnz .LBB4_41
.LBB4_38:                               ;   in Loop: Header=BB4_10 Depth=1
	s_or_b32 exec_lo, exec_lo, s4
	s_and_saveexec_b32 s4, s7
	s_cbranch_execz .LBB4_8
	s_branch .LBB4_42
.LBB4_39:                               ;   in Loop: Header=BB4_10 Depth=1
	s_wait_loadcnt 0x1
	v_add_nc_u64_e32 v[36:37], s[18:19], v[8:9]
	s_wait_loadcnt 0x0
	global_store_b64 v[36:37], v[30:31], off
	s_wait_xcnt 0x0
	s_or_b32 exec_lo, exec_lo, s27
	s_and_saveexec_b32 s4, s5
	s_cbranch_execz .LBB4_37
.LBB4_40:                               ;   in Loop: Header=BB4_10 Depth=1
	s_wait_loadcnt 0x0
	v_add_nc_u64_e32 v[30:31], s[18:19], v[26:27]
	global_store_b64 v[30:31], v[28:29], off
	s_wait_xcnt 0x0
	s_or_b32 exec_lo, exec_lo, s4
	s_and_saveexec_b32 s4, s6
	s_cbranch_execz .LBB4_38
.LBB4_41:                               ;   in Loop: Header=BB4_10 Depth=1
	s_wait_loadcnt 0x0
	v_add_nc_u64_e32 v[28:29], s[18:19], v[22:23]
	global_store_b64 v[28:29], v[34:35], off
	s_wait_xcnt 0x0
	s_or_b32 exec_lo, exec_lo, s4
	s_and_saveexec_b32 s4, s7
	s_cbranch_execz .LBB4_8
.LBB4_42:                               ;   in Loop: Header=BB4_10 Depth=1
	s_wait_loadcnt 0x0
	v_add_nc_u64_e32 v[28:29], s[18:19], v[16:17]
	global_store_b64 v[28:29], v[32:33], off
	s_branch .LBB4_8
.LBB4_43:
	s_mov_b32 s3, 0
.LBB4_44:
	s_delay_alu instid0(SALU_CYCLE_1)
	s_and_not1_b32 vcc_lo, exec_lo, s3
	s_cbranch_vccnz .LBB4_58
; %bb.45:
	v_dual_mov_b32 v23, 0 :: v_dual_lshlrev_b32 v22, 2, v0
	s_mov_b32 s3, exec_lo
	s_delay_alu instid0(VALU_DEP_1)
	v_cmpx_gt_i64_e64 s[16:17], v[22:23]
	s_cbranch_execz .LBB4_58
; %bb.46:
	s_load_b32 s1, s[0:1], 0xc9c
	s_wait_xcnt 0x0
	v_cmp_neq_f64_e64 s0, s[10:11], 0
	s_cmp_lg_u64 s[8:9], 0
	s_mov_b32 s5, 0
	s_cselect_b32 s3, -1, 0
	s_mov_b32 s7, s5
	s_wait_kmcnt 0x0
	s_and_b32 s6, s1, 0xffff
	s_wait_loadcnt 0x0
	v_dual_mov_b32 v1, v23 :: v_dual_add_nc_u32 v30, s6, v0
	v_add_lshl_u32 v22, v0, s6, 2
	s_lshl_b32 s4, s6, 2
	s_delay_alu instid0(VALU_DEP_1)
	v_mov_b64_e32 v[24:25], v[22:23]
	v_mov_b32_e32 v22, v0
	s_branch .LBB4_48
.LBB4_47:                               ;   in Loop: Header=BB4_48 Depth=1
	v_cmp_le_u64_e32 vcc_lo, s[16:17], v[24:25]
	v_add_nc_u32_e32 v22, s6, v22
	v_cmp_lt_u32_e64 s1, 0x3fff, v30
	v_add_nc_u64_e32 v[24:25], s[4:5], v[24:25]
	v_add_nc_u32_e32 v30, s6, v30
	s_delay_alu instid0(VALU_DEP_4) | instskip(SKIP_1) | instid1(SALU_CYCLE_1)
	v_mov_b64_e32 v[0:1], v[22:23]
	s_or_b32 s1, vcc_lo, s1
	s_and_b32 s1, exec_lo, s1
	s_delay_alu instid0(SALU_CYCLE_1)
	s_or_b32 s7, s1, s7
	s_wait_xcnt 0x0
	s_and_not1_b32 exec_lo, exec_lo, s7
	s_cbranch_execz .LBB4_58
.LBB4_48:                               ; =>This Inner Loop Header: Depth=1
	v_lshlrev_b64_e32 v[0:1], 5, v[0:1]
	s_and_not1_b32 vcc_lo, exec_lo, s3
	s_delay_alu instid0(VALU_DEP_1)
	v_add_nc_u64_e32 v[26:27], s[14:15], v[0:1]
	v_add_nc_u64_e32 v[28:29], s[12:13], v[0:1]
	s_clause 0x1
	global_load_b128 v[0:3], v[26:27], off offset:16
	global_load_b128 v[12:15], v[26:27], off
	s_clause 0x1
	global_load_b128 v[4:7], v[28:29], off offset:16
	global_load_b128 v[8:11], v[28:29], off
	s_cbranch_vccnz .LBB4_50
; %bb.49:                               ;   in Loop: Header=BB4_48 Depth=1
	global_load_b32 v16, v23, s[8:9]
	s_wait_loadcnt 0x0
	v_cvt_f64_f32_e32 v[16:17], v16
	s_delay_alu instid0(VALU_DEP_1) | instskip(NEXT) | instid1(VALU_DEP_1)
	v_div_scale_f64 v[18:19], null, v[16:17], v[16:17], v[8:9]
	v_rcp_f64_e32 v[32:33], v[18:19]
	v_nop
	s_delay_alu instid0(TRANS32_DEP_1) | instskip(NEXT) | instid1(VALU_DEP_1)
	v_fma_f64 v[34:35], -v[18:19], v[32:33], 1.0
	v_fmac_f64_e32 v[32:33], v[32:33], v[34:35]
	s_delay_alu instid0(VALU_DEP_1) | instskip(NEXT) | instid1(VALU_DEP_1)
	v_fma_f64 v[34:35], -v[18:19], v[32:33], 1.0
	v_fmac_f64_e32 v[32:33], v[32:33], v[34:35]
	v_div_scale_f64 v[34:35], vcc_lo, v[8:9], v[16:17], v[8:9]
	s_delay_alu instid0(VALU_DEP_1) | instskip(NEXT) | instid1(VALU_DEP_1)
	v_mul_f64_e32 v[36:37], v[34:35], v[32:33]
	v_fma_f64 v[18:19], -v[18:19], v[36:37], v[34:35]
	s_delay_alu instid0(VALU_DEP_1) | instskip(NEXT) | instid1(VALU_DEP_1)
	v_div_fmas_f64 v[18:19], v[18:19], v[32:33], v[36:37]
	v_div_fixup_f64 v[8:9], v[18:19], v[16:17], v[8:9]
.LBB4_50:                               ;   in Loop: Header=BB4_48 Depth=1
	s_and_not1_b32 vcc_lo, exec_lo, s3
	s_cbranch_vccnz .LBB4_52
; %bb.51:                               ;   in Loop: Header=BB4_48 Depth=1
	global_load_b32 v16, v23, s[8:9]
	s_wait_loadcnt 0x0
	v_cvt_f64_f32_e32 v[16:17], v16
	s_delay_alu instid0(VALU_DEP_1) | instskip(NEXT) | instid1(VALU_DEP_1)
	v_div_scale_f64 v[18:19], null, v[16:17], v[16:17], v[10:11]
	v_rcp_f64_e32 v[32:33], v[18:19]
	v_nop
	s_delay_alu instid0(TRANS32_DEP_1) | instskip(NEXT) | instid1(VALU_DEP_1)
	v_fma_f64 v[34:35], -v[18:19], v[32:33], 1.0
	v_fmac_f64_e32 v[32:33], v[32:33], v[34:35]
	s_delay_alu instid0(VALU_DEP_1) | instskip(NEXT) | instid1(VALU_DEP_1)
	v_fma_f64 v[34:35], -v[18:19], v[32:33], 1.0
	v_fmac_f64_e32 v[32:33], v[32:33], v[34:35]
	v_div_scale_f64 v[34:35], vcc_lo, v[10:11], v[16:17], v[10:11]
	s_delay_alu instid0(VALU_DEP_1) | instskip(NEXT) | instid1(VALU_DEP_1)
	v_mul_f64_e32 v[36:37], v[34:35], v[32:33]
	v_fma_f64 v[18:19], -v[18:19], v[36:37], v[34:35]
	s_delay_alu instid0(VALU_DEP_1) | instskip(NEXT) | instid1(VALU_DEP_1)
	v_div_fmas_f64 v[18:19], v[18:19], v[32:33], v[36:37]
	v_div_fixup_f64 v[10:11], v[18:19], v[16:17], v[10:11]
.LBB4_52:                               ;   in Loop: Header=BB4_48 Depth=1
	s_and_not1_b32 vcc_lo, exec_lo, s3
	s_cbranch_vccnz .LBB4_54
; %bb.53:                               ;   in Loop: Header=BB4_48 Depth=1
	global_load_b32 v16, v23, s[8:9]
	s_wait_loadcnt 0x0
	v_cvt_f64_f32_e32 v[16:17], v16
	s_delay_alu instid0(VALU_DEP_1) | instskip(NEXT) | instid1(VALU_DEP_1)
	v_div_scale_f64 v[18:19], null, v[16:17], v[16:17], v[4:5]
	v_rcp_f64_e32 v[32:33], v[18:19]
	v_nop
	s_delay_alu instid0(TRANS32_DEP_1) | instskip(NEXT) | instid1(VALU_DEP_1)
	v_fma_f64 v[34:35], -v[18:19], v[32:33], 1.0
	v_fmac_f64_e32 v[32:33], v[32:33], v[34:35]
	s_delay_alu instid0(VALU_DEP_1) | instskip(NEXT) | instid1(VALU_DEP_1)
	v_fma_f64 v[34:35], -v[18:19], v[32:33], 1.0
	v_fmac_f64_e32 v[32:33], v[32:33], v[34:35]
	v_div_scale_f64 v[34:35], vcc_lo, v[4:5], v[16:17], v[4:5]
	s_delay_alu instid0(VALU_DEP_1) | instskip(NEXT) | instid1(VALU_DEP_1)
	v_mul_f64_e32 v[36:37], v[34:35], v[32:33]
	v_fma_f64 v[18:19], -v[18:19], v[36:37], v[34:35]
	s_delay_alu instid0(VALU_DEP_1) | instskip(NEXT) | instid1(VALU_DEP_1)
	v_div_fmas_f64 v[18:19], v[18:19], v[32:33], v[36:37]
	v_div_fixup_f64 v[4:5], v[18:19], v[16:17], v[4:5]
.LBB4_54:                               ;   in Loop: Header=BB4_48 Depth=1
	s_wait_loadcnt 0x0
	s_delay_alu instid0(VALU_DEP_1) | instskip(NEXT) | instid1(VALU_DEP_2)
	v_xor_b32_e32 v17, 0x80000000, v11
	v_xor_b32_e32 v19, 0x80000000, v9
	s_delay_alu instid0(VALU_DEP_3) | instskip(NEXT) | instid1(VALU_DEP_4)
	v_xor_b32_e32 v31, 0x80000000, v5
	v_dual_mov_b32 v16, v10 :: v_dual_mov_b32 v18, v8
	s_delay_alu instid0(VALU_DEP_3) | instskip(NEXT) | instid1(VALU_DEP_3)
	v_dual_cndmask_b32 v17, v11, v17, s2 :: v_dual_cndmask_b32 v19, v9, v19, s2
	v_dual_mov_b32 v32, v4 :: v_dual_cndmask_b32 v33, v5, v31, s2
	s_and_not1_b32 vcc_lo, exec_lo, s3
	s_delay_alu instid0(VALU_DEP_2) | instskip(NEXT) | instid1(VALU_DEP_3)
	v_mov_b64_e32 v[34:35], v[16:17]
	v_mov_b64_e32 v[36:37], v[18:19]
	s_delay_alu instid0(VALU_DEP_3) | instskip(NEXT) | instid1(VALU_DEP_3)
	v_mov_b64_e32 v[38:39], v[32:33]
	v_fmac_f64_e32 v[34:35], s[10:11], v[14:15]
	s_delay_alu instid0(VALU_DEP_3) | instskip(NEXT) | instid1(VALU_DEP_3)
	v_fmac_f64_e32 v[36:37], s[10:11], v[12:13]
	v_fmac_f64_e32 v[38:39], s[10:11], v[0:1]
	s_delay_alu instid0(VALU_DEP_3) | instskip(NEXT) | instid1(VALU_DEP_3)
	v_dual_cndmask_b32 v17, v17, v35, s0 :: v_dual_cndmask_b32 v16, v10, v34, s0
	v_dual_cndmask_b32 v35, v19, v37, s0 :: v_dual_cndmask_b32 v34, v8, v36, s0
	s_delay_alu instid0(VALU_DEP_3) | instskip(NEXT) | instid1(VALU_DEP_3)
	v_dual_cndmask_b32 v33, v33, v39, s0 :: v_dual_cndmask_b32 v32, v4, v38, s0
	v_fma_f64 v[18:19], -v[20:21], v[16:17], v[14:15]
	s_delay_alu instid0(VALU_DEP_3) | instskip(NEXT) | instid1(VALU_DEP_3)
	v_fma_f64 v[16:17], -v[20:21], v[34:35], v[12:13]
	v_fma_f64 v[12:13], -v[20:21], v[32:33], v[0:1]
	s_cbranch_vccnz .LBB4_56
; %bb.55:                               ;   in Loop: Header=BB4_48 Depth=1
	global_load_b32 v0, v23, s[8:9]
	s_wait_loadcnt 0x0
	v_cvt_f64_f32_e32 v[0:1], v0
	s_delay_alu instid0(VALU_DEP_1) | instskip(SKIP_1) | instid1(VALU_DEP_2)
	v_div_scale_f64 v[14:15], null, v[0:1], v[0:1], v[6:7]
	v_div_scale_f64 v[36:37], vcc_lo, v[6:7], v[0:1], v[6:7]
	v_rcp_f64_e32 v[32:33], v[14:15]
	v_nop
	s_delay_alu instid0(TRANS32_DEP_1) | instskip(NEXT) | instid1(VALU_DEP_1)
	v_fma_f64 v[34:35], -v[14:15], v[32:33], 1.0
	v_fmac_f64_e32 v[32:33], v[32:33], v[34:35]
	s_delay_alu instid0(VALU_DEP_1) | instskip(NEXT) | instid1(VALU_DEP_1)
	v_fma_f64 v[34:35], -v[14:15], v[32:33], 1.0
	v_fmac_f64_e32 v[32:33], v[32:33], v[34:35]
	s_delay_alu instid0(VALU_DEP_1) | instskip(NEXT) | instid1(VALU_DEP_1)
	v_mul_f64_e32 v[34:35], v[36:37], v[32:33]
	v_fma_f64 v[14:15], -v[14:15], v[34:35], v[36:37]
	s_delay_alu instid0(VALU_DEP_1) | instskip(SKIP_1) | instid1(VALU_DEP_2)
	v_div_fmas_f64 v[14:15], v[14:15], v[32:33], v[34:35]
	v_dual_mov_b32 v32, v4 :: v_dual_mov_b32 v33, v5
	v_div_fixup_f64 v[34:35], v[14:15], v[0:1], v[6:7]
	s_delay_alu instid0(VALU_DEP_1) | instskip(NEXT) | instid1(VALU_DEP_1)
	v_xor_b32_e32 v1, 0x80000000, v35
	v_dual_mov_b32 v0, v34 :: v_dual_cndmask_b32 v1, v35, v1, s2
	s_delay_alu instid0(VALU_DEP_1) | instskip(NEXT) | instid1(VALU_DEP_1)
	v_mov_b64_e32 v[14:15], v[0:1]
	v_fmac_f64_e32 v[14:15], s[10:11], v[2:3]
	s_delay_alu instid0(VALU_DEP_1) | instskip(NEXT) | instid1(VALU_DEP_1)
	v_dual_cndmask_b32 v1, v1, v15, s0 :: v_dual_cndmask_b32 v0, v34, v14, s0
	v_fma_f64 v[14:15], -v[20:21], v[0:1], v[2:3]
	s_clause 0x1
	global_store_b128 v[26:27], v[16:19], off
	global_store_b128 v[26:27], v[12:15], off offset:16
	s_clause 0x1
	global_store_b128 v[28:29], v[8:11], off
	global_store_b128 v[28:29], v[32:35], off offset:16
	s_cbranch_execnz .LBB4_47
	s_branch .LBB4_57
.LBB4_56:                               ;   in Loop: Header=BB4_48 Depth=1
.LBB4_57:                               ;   in Loop: Header=BB4_48 Depth=1
	v_xor_b32_e32 v0, 0x80000000, v7
	s_delay_alu instid0(VALU_DEP_1) | instskip(NEXT) | instid1(VALU_DEP_1)
	v_cndmask_b32_e64 v7, v7, v0, s2
	v_mov_b64_e32 v[0:1], v[6:7]
	s_delay_alu instid0(VALU_DEP_1) | instskip(NEXT) | instid1(VALU_DEP_1)
	v_fmac_f64_e32 v[0:1], s[10:11], v[2:3]
	v_dual_cndmask_b32 v0, v6, v0, s0 :: v_dual_cndmask_b32 v1, v7, v1, s0
	s_wait_xcnt 0x2
	s_delay_alu instid0(VALU_DEP_1)
	v_fma_f64 v[14:15], -v[20:21], v[0:1], v[2:3]
	s_clause 0x1
	global_store_b128 v[26:27], v[16:19], off
	global_store_b128 v[26:27], v[12:15], off offset:16
	s_branch .LBB4_47
.LBB4_58:
	s_endpgm
	.section	.rodata,"a",@progbits
	.p2align	6, 0x0
	.amdhsa_kernel _ZN2at6native12_GLOBAL__N_125multi_tensor_apply_kernelINS1_18TensorListMetadataILi2EEENS1_19FusedSgdMathFunctorIdLi2EEEJddPfddbbbS7_S7_EEEvT_T0_DpT1_
		.amdhsa_group_segment_fixed_size 0
		.amdhsa_private_segment_fixed_size 0
		.amdhsa_kernarg_size 3472
		.amdhsa_user_sgpr_count 2
		.amdhsa_user_sgpr_dispatch_ptr 0
		.amdhsa_user_sgpr_queue_ptr 0
		.amdhsa_user_sgpr_kernarg_segment_ptr 1
		.amdhsa_user_sgpr_dispatch_id 0
		.amdhsa_user_sgpr_kernarg_preload_length 0
		.amdhsa_user_sgpr_kernarg_preload_offset 0
		.amdhsa_user_sgpr_private_segment_size 0
		.amdhsa_wavefront_size32 1
		.amdhsa_uses_dynamic_stack 0
		.amdhsa_enable_private_segment 0
		.amdhsa_system_sgpr_workgroup_id_x 1
		.amdhsa_system_sgpr_workgroup_id_y 0
		.amdhsa_system_sgpr_workgroup_id_z 0
		.amdhsa_system_sgpr_workgroup_info 0
		.amdhsa_system_vgpr_workitem_id 0
		.amdhsa_next_free_vgpr 54
		.amdhsa_next_free_sgpr 30
		.amdhsa_named_barrier_count 0
		.amdhsa_reserve_vcc 1
		.amdhsa_float_round_mode_32 0
		.amdhsa_float_round_mode_16_64 0
		.amdhsa_float_denorm_mode_32 3
		.amdhsa_float_denorm_mode_16_64 3
		.amdhsa_fp16_overflow 0
		.amdhsa_memory_ordered 1
		.amdhsa_forward_progress 1
		.amdhsa_inst_pref_size 25
		.amdhsa_round_robin_scheduling 0
		.amdhsa_exception_fp_ieee_invalid_op 0
		.amdhsa_exception_fp_denorm_src 0
		.amdhsa_exception_fp_ieee_div_zero 0
		.amdhsa_exception_fp_ieee_overflow 0
		.amdhsa_exception_fp_ieee_underflow 0
		.amdhsa_exception_fp_ieee_inexact 0
		.amdhsa_exception_int_div_zero 0
	.end_amdhsa_kernel
	.section	.text._ZN2at6native12_GLOBAL__N_125multi_tensor_apply_kernelINS1_18TensorListMetadataILi2EEENS1_19FusedSgdMathFunctorIdLi2EEEJddPfddbbbS7_S7_EEEvT_T0_DpT1_,"axG",@progbits,_ZN2at6native12_GLOBAL__N_125multi_tensor_apply_kernelINS1_18TensorListMetadataILi2EEENS1_19FusedSgdMathFunctorIdLi2EEEJddPfddbbbS7_S7_EEEvT_T0_DpT1_,comdat
.Lfunc_end4:
	.size	_ZN2at6native12_GLOBAL__N_125multi_tensor_apply_kernelINS1_18TensorListMetadataILi2EEENS1_19FusedSgdMathFunctorIdLi2EEEJddPfddbbbS7_S7_EEEvT_T0_DpT1_, .Lfunc_end4-_ZN2at6native12_GLOBAL__N_125multi_tensor_apply_kernelINS1_18TensorListMetadataILi2EEENS1_19FusedSgdMathFunctorIdLi2EEEJddPfddbbbS7_S7_EEEvT_T0_DpT1_
                                        ; -- End function
	.set _ZN2at6native12_GLOBAL__N_125multi_tensor_apply_kernelINS1_18TensorListMetadataILi2EEENS1_19FusedSgdMathFunctorIdLi2EEEJddPfddbbbS7_S7_EEEvT_T0_DpT1_.num_vgpr, 54
	.set _ZN2at6native12_GLOBAL__N_125multi_tensor_apply_kernelINS1_18TensorListMetadataILi2EEENS1_19FusedSgdMathFunctorIdLi2EEEJddPfddbbbS7_S7_EEEvT_T0_DpT1_.num_agpr, 0
	.set _ZN2at6native12_GLOBAL__N_125multi_tensor_apply_kernelINS1_18TensorListMetadataILi2EEENS1_19FusedSgdMathFunctorIdLi2EEEJddPfddbbbS7_S7_EEEvT_T0_DpT1_.numbered_sgpr, 30
	.set _ZN2at6native12_GLOBAL__N_125multi_tensor_apply_kernelINS1_18TensorListMetadataILi2EEENS1_19FusedSgdMathFunctorIdLi2EEEJddPfddbbbS7_S7_EEEvT_T0_DpT1_.num_named_barrier, 0
	.set _ZN2at6native12_GLOBAL__N_125multi_tensor_apply_kernelINS1_18TensorListMetadataILi2EEENS1_19FusedSgdMathFunctorIdLi2EEEJddPfddbbbS7_S7_EEEvT_T0_DpT1_.private_seg_size, 0
	.set _ZN2at6native12_GLOBAL__N_125multi_tensor_apply_kernelINS1_18TensorListMetadataILi2EEENS1_19FusedSgdMathFunctorIdLi2EEEJddPfddbbbS7_S7_EEEvT_T0_DpT1_.uses_vcc, 1
	.set _ZN2at6native12_GLOBAL__N_125multi_tensor_apply_kernelINS1_18TensorListMetadataILi2EEENS1_19FusedSgdMathFunctorIdLi2EEEJddPfddbbbS7_S7_EEEvT_T0_DpT1_.uses_flat_scratch, 0
	.set _ZN2at6native12_GLOBAL__N_125multi_tensor_apply_kernelINS1_18TensorListMetadataILi2EEENS1_19FusedSgdMathFunctorIdLi2EEEJddPfddbbbS7_S7_EEEvT_T0_DpT1_.has_dyn_sized_stack, 0
	.set _ZN2at6native12_GLOBAL__N_125multi_tensor_apply_kernelINS1_18TensorListMetadataILi2EEENS1_19FusedSgdMathFunctorIdLi2EEEJddPfddbbbS7_S7_EEEvT_T0_DpT1_.has_recursion, 0
	.set _ZN2at6native12_GLOBAL__N_125multi_tensor_apply_kernelINS1_18TensorListMetadataILi2EEENS1_19FusedSgdMathFunctorIdLi2EEEJddPfddbbbS7_S7_EEEvT_T0_DpT1_.has_indirect_call, 0
	.section	.AMDGPU.csdata,"",@progbits
; Kernel info:
; codeLenInByte = 3176
; TotalNumSgprs: 32
; NumVgprs: 54
; ScratchSize: 0
; MemoryBound: 1
; FloatMode: 240
; IeeeMode: 1
; LDSByteSize: 0 bytes/workgroup (compile time only)
; SGPRBlocks: 0
; VGPRBlocks: 3
; NumSGPRsForWavesPerEU: 32
; NumVGPRsForWavesPerEU: 54
; NamedBarCnt: 0
; Occupancy: 16
; WaveLimiterHint : 0
; COMPUTE_PGM_RSRC2:SCRATCH_EN: 0
; COMPUTE_PGM_RSRC2:USER_SGPR: 2
; COMPUTE_PGM_RSRC2:TRAP_HANDLER: 0
; COMPUTE_PGM_RSRC2:TGID_X_EN: 1
; COMPUTE_PGM_RSRC2:TGID_Y_EN: 0
; COMPUTE_PGM_RSRC2:TGID_Z_EN: 0
; COMPUTE_PGM_RSRC2:TIDIG_COMP_CNT: 0
	.section	.text._ZN2at6native12_GLOBAL__N_125multi_tensor_apply_kernelINS1_18TensorListMetadataILi2EEENS1_19FusedSgdMathFunctorIfLi2EEEJddPfddbbbS7_S7_EEEvT_T0_DpT1_,"axG",@progbits,_ZN2at6native12_GLOBAL__N_125multi_tensor_apply_kernelINS1_18TensorListMetadataILi2EEENS1_19FusedSgdMathFunctorIfLi2EEEJddPfddbbbS7_S7_EEEvT_T0_DpT1_,comdat
	.globl	_ZN2at6native12_GLOBAL__N_125multi_tensor_apply_kernelINS1_18TensorListMetadataILi2EEENS1_19FusedSgdMathFunctorIfLi2EEEJddPfddbbbS7_S7_EEEvT_T0_DpT1_ ; -- Begin function _ZN2at6native12_GLOBAL__N_125multi_tensor_apply_kernelINS1_18TensorListMetadataILi2EEENS1_19FusedSgdMathFunctorIfLi2EEEJddPfddbbbS7_S7_EEEvT_T0_DpT1_
	.p2align	8
	.type	_ZN2at6native12_GLOBAL__N_125multi_tensor_apply_kernelINS1_18TensorListMetadataILi2EEENS1_19FusedSgdMathFunctorIfLi2EEEJddPfddbbbS7_S7_EEEvT_T0_DpT1_,@function
_ZN2at6native12_GLOBAL__N_125multi_tensor_apply_kernelINS1_18TensorListMetadataILi2EEENS1_19FusedSgdMathFunctorIfLi2EEEJddPfddbbbS7_S7_EEEvT_T0_DpT1_: ; @_ZN2at6native12_GLOBAL__N_125multi_tensor_apply_kernelINS1_18TensorListMetadataILi2EEENS1_19FusedSgdMathFunctorIfLi2EEEJddPfddbbbS7_S7_EEEvT_T0_DpT1_
; %bb.0:
	s_load_b128 s[8:11], s[0:1], 0xc80
	s_wait_kmcnt 0x0
	s_cmp_eq_u64 s[10:11], 0
	s_cselect_b32 s2, -1, 0
	s_delay_alu instid0(SALU_CYCLE_1)
	s_and_b32 vcc_lo, exec_lo, s2
	s_cbranch_vccnz .LBB5_2
; %bb.1:
	s_load_b32 s2, s[10:11], 0x0
	s_wait_kmcnt 0x0
	s_cmp_neq_f32 s2, 1.0
	s_cselect_b32 s2, -1, 0
.LBB5_2:
	s_delay_alu instid0(SALU_CYCLE_1)
	s_and_not1_b32 vcc_lo, exec_lo, s2
	s_cbranch_vccnz .LBB5_59
; %bb.3:
	s_bfe_u32 s2, ttmp6, 0x4000c
	s_and_b32 s3, ttmp6, 15
	s_add_co_i32 s2, s2, 1
	s_getreg_b32 s4, hwreg(HW_REG_IB_STS2, 6, 4)
	s_mul_i32 s2, ttmp9, s2
	s_delay_alu instid0(SALU_CYCLE_1)
	s_add_co_i32 s3, s3, s2
	s_cmp_eq_u32 s4, 0
	s_load_b128 s[4:7], s[0:1], 0xc60
	s_cselect_b32 s2, ttmp9, s3
	s_mov_b32 s3, 0
	v_mov_b32_e32 v1, s2
	s_add_nc_u64 s[10:11], s[0:1], s[2:3]
	s_mul_u64 s[14:15], s[2:3], 3
	s_delay_alu instid0(SALU_CYCLE_1)
	s_add_nc_u64 s[10:11], s[10:11], s[14:15]
	global_load_u8 v1, v1, s[0:1] offset:1536
	s_wait_kmcnt 0x0
	s_cmp_eq_u64 s[4:5], 0
	s_wait_loadcnt 0x0
	v_readfirstlane_b32 s12, v1
	s_cbranch_scc1 .LBB5_60
; %bb.4:
	s_load_b32 s2, s[4:5], 0x0
	s_load_b32 s14, s[10:11], 0x740
	s_wait_kmcnt 0x0
	v_mov_b32_e32 v26, s2
	s_and_not1_b32 vcc_lo, exec_lo, s3
	s_cbranch_vccnz .LBB5_6
.LBB5_5:
	v_cvt_f32_f64_e32 v26, s[6:7]
.LBB5_6:
	s_load_b32 s2, s[0:1], 0xc78
	s_wait_xcnt 0x0
	s_load_b64 s[10:11], s[0:1], 0xc50
	s_mov_b32 s21, 0
	s_wait_kmcnt 0x0
	s_bitcmp1_b32 s2, 8
	v_cvt_f32_f64_e32 v27, s[10:11]
	s_cselect_b32 s7, -1, 0
	s_and_b32 s6, s12, 0xff
	s_clause 0x2
	s_load_b64 s[18:19], s[0:1], s6 offset:0x400 scale_offset
	s_load_b64 s[2:3], s[0:1], s6 offset:0x0 scale_offset
	;; [unrolled: 1-line block ×3, first 2 shown]
	s_ashr_i32 s15, s14, 31
	s_wait_xcnt 0x0
	s_mov_b32 s6, -1
	s_lshl_b64 s[16:17], s[14:15], 18
	s_lshl_b64 s[14:15], s[14:15], 16
	s_wait_kmcnt 0x0
	s_and_b64 s[22:23], s[18:19], 3
	s_add_nc_u64 s[12:13], s[2:3], s[16:17]
	s_add_nc_u64 s[10:11], s[4:5], s[16:17]
	s_and_b64 s[24:25], s[12:13], 15
	s_and_b32 s20, s10, 15
	s_sub_nc_u64 s[14:15], s[18:19], s[14:15]
	s_or_b64 s[20:21], s[22:23], s[20:21]
	s_delay_alu instid0(SALU_CYCLE_1) | instskip(NEXT) | instid1(SALU_CYCLE_1)
	s_or_b64 s[20:21], s[20:21], s[24:25]
	s_cmp_eq_u64 s[20:21], 0
	s_cbranch_scc1 .LBB5_45
; %bb.7:
	v_cmp_lt_i64_e64 s6, s[14:15], 1
	s_and_b32 vcc_lo, exec_lo, s6
	s_cbranch_vccnz .LBB5_44
; %bb.8:
	s_load_b32 s6, s[0:1], 0xc9c
	v_min_i64 v[2:3], 0x10000, s[14:15]
	v_dual_mov_b32 v1, 0 :: v_dual_lshlrev_b32 v8, 2, v0
	s_mov_b32 s23, 0
	s_mov_b64 s[18:19], 0
	s_mov_b32 s29, s23
	s_delay_alu instid0(VALU_DEP_1) | instskip(SKIP_2) | instid1(VALU_DEP_1)
	v_dual_mov_b32 v9, v1 :: v_dual_mov_b32 v25, v1
	s_mov_b32 s21, s23
	s_mov_b32 s27, s23
	v_add_nc_u64_e32 v[4:5], s[2:3], v[8:9]
	s_wait_kmcnt 0x0
	s_and_b32 s22, s6, 0xffff
	s_delay_alu instid0(SALU_CYCLE_1)
	s_lshl_b32 s20, s22, 1
	v_add_nc_u64_e32 v[6:7], s[22:23], v[0:1]
	v_mad_nc_u64_u32 v[16:17], s22, 12, v[8:9]
	s_cmp_lg_u64 s[8:9], 0
	s_mul_i32 s26, s22, 3
	s_cselect_b32 s24, -1, 0
	s_lshl_b32 s28, s22, 3
	v_add_nc_u64_e32 v[10:11], s[26:27], v[0:1]
	v_add_nc_u64_e32 v[20:21], s[28:29], v[8:9]
	v_lshlrev_b32_e32 v24, 2, v6
	v_add_nc_u64_e32 v[8:9], s[4:5], v[8:9]
	v_add_nc_u64_e32 v[12:13], s[20:21], v[0:1]
	s_lshl_b32 s20, s22, 2
	v_add_nc_u64_e32 v[14:15], s[2:3], v[16:17]
	v_add_nc_u64_e32 v[16:17], s[4:5], v[16:17]
	v_add_nc_u64_e32 v[18:19], s[2:3], v[20:21]
	v_add_nc_u64_e32 v[20:21], s[4:5], v[20:21]
	v_add_nc_u64_e32 v[22:23], s[2:3], v[24:25]
	v_add_nc_u64_e32 v[24:25], s[4:5], v[24:25]
	v_cmp_neq_f32_e64 s2, 0, v27
	s_lshl_b32 s22, s22, 4
	s_branch .LBB5_11
.LBB5_9:                                ;   in Loop: Header=BB5_11 Depth=1
	s_wait_xcnt 0x0
	s_or_b32 exec_lo, exec_lo, s3
.LBB5_10:                               ;   in Loop: Header=BB5_11 Depth=1
	s_add_nc_u64 s[18:19], s[18:19], s[20:21]
	v_add_nc_u64_e32 v[4:5], s[22:23], v[4:5]
	v_cmp_lt_i64_e32 vcc_lo, s[18:19], v[2:3]
	v_add_nc_u64_e32 v[8:9], s[22:23], v[8:9]
	v_add_nc_u64_e32 v[14:15], s[22:23], v[14:15]
	;; [unrolled: 1-line block ×7, first 2 shown]
	s_cbranch_vccz .LBB5_44
.LBB5_11:                               ; =>This Inner Loop Header: Depth=1
	s_wait_loadcnt 0x0
	v_add_nc_u64_e32 v[28:29], s[18:19], v[0:1]
	v_mov_b32_e32 v32, 0
	s_delay_alu instid0(VALU_DEP_2)
	v_cmp_lt_i64_e64 s3, v[28:29], v[2:3]
	v_mov_b32_e32 v28, 0
	s_and_saveexec_b32 s4, s3
	s_cbranch_execz .LBB5_13
; %bb.12:                               ;   in Loop: Header=BB5_11 Depth=1
	v_add_nc_u64_e32 v[30:31], s[16:17], v[4:5]
	v_add_nc_u64_e32 v[34:35], s[16:17], v[8:9]
	global_load_b32 v32, v[30:31], off
	global_load_b32 v28, v[34:35], off
.LBB5_13:                               ;   in Loop: Header=BB5_11 Depth=1
	s_wait_xcnt 0x0
	s_or_b32 exec_lo, exec_lo, s4
	v_add_nc_u64_e32 v[30:31], s[18:19], v[6:7]
	v_dual_mov_b32 v29, 0 :: v_dual_mov_b32 v33, 0
	s_delay_alu instid0(VALU_DEP_2)
	v_cmp_lt_i64_e64 s4, v[30:31], v[2:3]
	v_mov_b32_e32 v30, 0
	s_and_saveexec_b32 s5, s4
	s_cbranch_execz .LBB5_15
; %bb.14:                               ;   in Loop: Header=BB5_11 Depth=1
	v_add_nc_u64_e32 v[34:35], s[16:17], v[22:23]
	v_add_nc_u64_e32 v[36:37], s[16:17], v[24:25]
	global_load_b32 v33, v[34:35], off
	global_load_b32 v30, v[36:37], off
.LBB5_15:                               ;   in Loop: Header=BB5_11 Depth=1
	s_wait_xcnt 0x0
	s_or_b32 exec_lo, exec_lo, s5
	v_add_nc_u64_e32 v[34:35], s[18:19], v[12:13]
	s_delay_alu instid0(VALU_DEP_1)
	v_cmp_lt_i64_e64 s5, v[34:35], v[2:3]
	v_mov_b32_e32 v34, 0
	s_and_saveexec_b32 s6, s5
	s_cbranch_execz .LBB5_17
; %bb.16:                               ;   in Loop: Header=BB5_11 Depth=1
	v_add_nc_u64_e32 v[36:37], s[16:17], v[18:19]
	v_add_nc_u64_e32 v[38:39], s[16:17], v[20:21]
	global_load_b32 v34, v[36:37], off
	global_load_b32 v29, v[38:39], off
.LBB5_17:                               ;   in Loop: Header=BB5_11 Depth=1
	s_wait_xcnt 0x0
	s_or_b32 exec_lo, exec_lo, s6
	v_add_nc_u64_e32 v[36:37], s[18:19], v[10:11]
	v_dual_mov_b32 v31, 0 :: v_dual_mov_b32 v35, 0
	s_delay_alu instid0(VALU_DEP_2)
	v_cmp_lt_i64_e64 s6, v[36:37], v[2:3]
	s_and_saveexec_b32 s25, s6
	s_cbranch_execz .LBB5_19
; %bb.18:                               ;   in Loop: Header=BB5_11 Depth=1
	v_add_nc_u64_e32 v[36:37], s[16:17], v[14:15]
	v_add_nc_u64_e32 v[38:39], s[16:17], v[16:17]
	global_load_b32 v35, v[36:37], off
	global_load_b32 v31, v[38:39], off
.LBB5_19:                               ;   in Loop: Header=BB5_11 Depth=1
	s_wait_xcnt 0x0
	s_or_b32 exec_lo, exec_lo, s25
	s_delay_alu instid0(SALU_CYCLE_1)
	s_and_not1_b32 vcc_lo, exec_lo, s24
	s_cbranch_vccnz .LBB5_21
; %bb.20:                               ;   in Loop: Header=BB5_11 Depth=1
	global_load_b32 v36, v1, s[8:9]
	s_wait_loadcnt 0x0
	v_div_scale_f32 v37, null, v36, v36, v28
	s_delay_alu instid0(VALU_DEP_1) | instskip(SKIP_1) | instid1(TRANS32_DEP_1)
	v_rcp_f32_e32 v38, v37
	v_nop
	v_fma_f32 v39, -v37, v38, 1.0
	s_delay_alu instid0(VALU_DEP_1) | instskip(SKIP_1) | instid1(VALU_DEP_1)
	v_fmac_f32_e32 v38, v39, v38
	v_div_scale_f32 v39, vcc_lo, v28, v36, v28
	v_mul_f32_e32 v40, v39, v38
	s_delay_alu instid0(VALU_DEP_1) | instskip(NEXT) | instid1(VALU_DEP_1)
	v_fma_f32 v41, -v37, v40, v39
	v_fmac_f32_e32 v40, v41, v38
	s_delay_alu instid0(VALU_DEP_1) | instskip(NEXT) | instid1(VALU_DEP_1)
	v_fma_f32 v37, -v37, v40, v39
	v_div_fmas_f32 v37, v37, v38, v40
	s_delay_alu instid0(VALU_DEP_1)
	v_div_fixup_f32 v28, v37, v36, v28
.LBB5_21:                               ;   in Loop: Header=BB5_11 Depth=1
	s_and_not1_b32 vcc_lo, exec_lo, s24
	s_cbranch_vccnz .LBB5_23
; %bb.22:                               ;   in Loop: Header=BB5_11 Depth=1
	global_load_b32 v36, v1, s[8:9]
	s_wait_loadcnt 0x0
	v_div_scale_f32 v37, null, v36, v36, v30
	s_delay_alu instid0(VALU_DEP_1) | instskip(SKIP_1) | instid1(TRANS32_DEP_1)
	v_rcp_f32_e32 v38, v37
	v_nop
	v_fma_f32 v39, -v37, v38, 1.0
	s_delay_alu instid0(VALU_DEP_1) | instskip(SKIP_1) | instid1(VALU_DEP_1)
	v_fmac_f32_e32 v38, v39, v38
	v_div_scale_f32 v39, vcc_lo, v30, v36, v30
	v_mul_f32_e32 v40, v39, v38
	s_delay_alu instid0(VALU_DEP_1) | instskip(NEXT) | instid1(VALU_DEP_1)
	v_fma_f32 v41, -v37, v40, v39
	v_fmac_f32_e32 v40, v41, v38
	s_delay_alu instid0(VALU_DEP_1) | instskip(NEXT) | instid1(VALU_DEP_1)
	v_fma_f32 v37, -v37, v40, v39
	v_div_fmas_f32 v37, v37, v38, v40
	s_delay_alu instid0(VALU_DEP_1)
	v_div_fixup_f32 v30, v37, v36, v30
.LBB5_23:                               ;   in Loop: Header=BB5_11 Depth=1
	;; [unrolled: 23-line block ×4, first 2 shown]
	s_wait_xcnt 0x0
	s_and_saveexec_b32 s25, s3
	s_cbranch_execnz .LBB5_32
; %bb.28:                               ;   in Loop: Header=BB5_11 Depth=1
	s_or_b32 exec_lo, exec_lo, s25
	s_and_saveexec_b32 s25, s4
	s_cbranch_execnz .LBB5_33
.LBB5_29:                               ;   in Loop: Header=BB5_11 Depth=1
	s_or_b32 exec_lo, exec_lo, s25
	s_and_saveexec_b32 s25, s5
	s_cbranch_execnz .LBB5_34
.LBB5_30:                               ;   in Loop: Header=BB5_11 Depth=1
	s_or_b32 exec_lo, exec_lo, s25
	s_and_saveexec_b32 s25, s6
	s_cbranch_execnz .LBB5_35
.LBB5_31:                               ;   in Loop: Header=BB5_11 Depth=1
	s_or_b32 exec_lo, exec_lo, s25
	s_delay_alu instid0(SALU_CYCLE_1)
	s_and_not1_b32 vcc_lo, exec_lo, s24
	s_cbranch_vccz .LBB5_36
	s_branch .LBB5_10
.LBB5_32:                               ;   in Loop: Header=BB5_11 Depth=1
	s_wait_loadcnt 0x0
	v_cndmask_b32_e64 v36, v28, -v28, s7
	s_delay_alu instid0(VALU_DEP_1) | instskip(NEXT) | instid1(VALU_DEP_1)
	v_fma_f32 v37, v32, v27, v36
	v_cndmask_b32_e64 v38, v36, v37, s2
	v_add_nc_u64_e32 v[36:37], s[16:17], v[4:5]
	s_delay_alu instid0(VALU_DEP_2)
	v_fma_f32 v32, -v26, v38, v32
	global_store_b32 v[36:37], v32, off
	s_wait_xcnt 0x0
	s_or_b32 exec_lo, exec_lo, s25
	s_and_saveexec_b32 s25, s4
	s_cbranch_execz .LBB5_29
.LBB5_33:                               ;   in Loop: Header=BB5_11 Depth=1
	s_wait_loadcnt 0x0
	v_cndmask_b32_e64 v32, v30, -v30, s7
	s_delay_alu instid0(VALU_DEP_1) | instskip(NEXT) | instid1(VALU_DEP_1)
	v_fma_f32 v36, v33, v27, v32
	v_cndmask_b32_e64 v32, v32, v36, s2
	v_add_nc_u64_e32 v[36:37], s[16:17], v[22:23]
	s_delay_alu instid0(VALU_DEP_2)
	v_fma_f32 v32, -v26, v32, v33
	global_store_b32 v[36:37], v32, off
	s_wait_xcnt 0x0
	s_or_b32 exec_lo, exec_lo, s25
	s_and_saveexec_b32 s25, s5
	s_cbranch_execz .LBB5_30
.LBB5_34:                               ;   in Loop: Header=BB5_11 Depth=1
	s_wait_loadcnt 0x0
	v_cndmask_b32_e64 v32, v29, -v29, s7
	s_delay_alu instid0(VALU_DEP_1) | instskip(NEXT) | instid1(VALU_DEP_1)
	v_fma_f32 v33, v34, v27, v32
	v_cndmask_b32_e64 v36, v32, v33, s2
	v_add_nc_u64_e32 v[32:33], s[16:17], v[18:19]
	s_delay_alu instid0(VALU_DEP_2)
	v_fma_f32 v34, -v26, v36, v34
	global_store_b32 v[32:33], v34, off
	s_wait_xcnt 0x0
	s_or_b32 exec_lo, exec_lo, s25
	s_and_saveexec_b32 s25, s6
	s_cbranch_execz .LBB5_31
.LBB5_35:                               ;   in Loop: Header=BB5_11 Depth=1
	s_wait_loadcnt 0x0
	v_cndmask_b32_e64 v32, v31, -v31, s7
	s_delay_alu instid0(VALU_DEP_1) | instskip(NEXT) | instid1(VALU_DEP_1)
	v_fma_f32 v33, v35, v27, v32
	v_cndmask_b32_e64 v34, v32, v33, s2
	v_add_nc_u64_e32 v[32:33], s[16:17], v[14:15]
	s_delay_alu instid0(VALU_DEP_2) | instskip(SKIP_3) | instid1(SALU_CYCLE_1)
	v_fma_f32 v34, -v26, v34, v35
	global_store_b32 v[32:33], v34, off
	s_wait_xcnt 0x0
	s_or_b32 exec_lo, exec_lo, s25
	s_and_not1_b32 vcc_lo, exec_lo, s24
	s_cbranch_vccnz .LBB5_10
.LBB5_36:                               ;   in Loop: Header=BB5_11 Depth=1
	s_and_saveexec_b32 s25, s3
	s_cbranch_execnz .LBB5_40
; %bb.37:                               ;   in Loop: Header=BB5_11 Depth=1
	s_or_b32 exec_lo, exec_lo, s25
	s_and_saveexec_b32 s3, s4
	s_cbranch_execnz .LBB5_41
.LBB5_38:                               ;   in Loop: Header=BB5_11 Depth=1
	s_or_b32 exec_lo, exec_lo, s3
	s_and_saveexec_b32 s3, s5
	s_cbranch_execnz .LBB5_42
.LBB5_39:                               ;   in Loop: Header=BB5_11 Depth=1
	s_or_b32 exec_lo, exec_lo, s3
	s_and_saveexec_b32 s3, s6
	s_cbranch_execz .LBB5_9
	s_branch .LBB5_43
.LBB5_40:                               ;   in Loop: Header=BB5_11 Depth=1
	s_wait_loadcnt 0x1
	v_add_nc_u64_e32 v[32:33], s[16:17], v[8:9]
	s_wait_loadcnt 0x0
	global_store_b32 v[32:33], v28, off
	s_wait_xcnt 0x0
	s_or_b32 exec_lo, exec_lo, s25
	s_and_saveexec_b32 s3, s4
	s_cbranch_execz .LBB5_38
.LBB5_41:                               ;   in Loop: Header=BB5_11 Depth=1
	s_wait_loadcnt 0x1
	v_add_nc_u64_e32 v[32:33], s[16:17], v[24:25]
	s_wait_loadcnt 0x0
	global_store_b32 v[32:33], v30, off
	s_wait_xcnt 0x0
	s_or_b32 exec_lo, exec_lo, s3
	s_and_saveexec_b32 s3, s5
	s_cbranch_execz .LBB5_39
.LBB5_42:                               ;   in Loop: Header=BB5_11 Depth=1
	s_wait_loadcnt 0x1
	v_add_nc_u64_e32 v[32:33], s[16:17], v[20:21]
	s_wait_loadcnt 0x0
	global_store_b32 v[32:33], v29, off
	s_wait_xcnt 0x0
	s_or_b32 exec_lo, exec_lo, s3
	s_and_saveexec_b32 s3, s6
	s_cbranch_execz .LBB5_9
.LBB5_43:                               ;   in Loop: Header=BB5_11 Depth=1
	s_wait_loadcnt 0x0
	v_add_nc_u64_e32 v[28:29], s[16:17], v[16:17]
	global_store_b32 v[28:29], v31, off
	s_branch .LBB5_9
.LBB5_44:
	s_mov_b32 s6, 0
.LBB5_45:
	s_delay_alu instid0(SALU_CYCLE_1)
	s_and_not1_b32 vcc_lo, exec_lo, s6
	s_cbranch_vccnz .LBB5_59
; %bb.46:
	v_dual_mov_b32 v13, 0 :: v_dual_lshlrev_b32 v12, 2, v0
	s_mov_b32 s2, exec_lo
	s_delay_alu instid0(VALU_DEP_1)
	v_cmpx_gt_i64_e64 s[14:15], v[12:13]
	s_cbranch_execz .LBB5_59
; %bb.47:
	s_load_b32 s0, s[0:1], 0xc9c
	s_cmp_lg_u64 s[8:9], 0
	s_mov_b32 s3, 0
	s_cselect_b32 s4, -1, 0
	s_mov_b32 s6, s3
	s_wait_kmcnt 0x0
	s_and_b32 s5, s0, 0xffff
	s_delay_alu instid0(SALU_CYCLE_1)
	v_dual_mov_b32 v1, v13 :: v_dual_add_nc_u32 v20, s5, v0
	v_add_lshl_u32 v12, v0, s5, 2
	v_cmp_neq_f32_e64 s0, 0, v27
	s_lshl_b32 s2, s5, 2
	v_mov_b64_e32 v[14:15], v[12:13]
	v_mov_b32_e32 v12, v0
	s_branch .LBB5_49
.LBB5_48:                               ;   in Loop: Header=BB5_49 Depth=1
	v_cmp_le_u64_e32 vcc_lo, s[14:15], v[14:15]
	v_add_nc_u32_e32 v12, s5, v12
	v_cmp_lt_u32_e64 s1, 0x3fff, v20
	v_add_nc_u64_e32 v[14:15], s[2:3], v[14:15]
	v_add_nc_u32_e32 v20, s5, v20
	s_delay_alu instid0(VALU_DEP_4) | instskip(SKIP_1) | instid1(SALU_CYCLE_1)
	v_mov_b64_e32 v[0:1], v[12:13]
	s_or_b32 s1, vcc_lo, s1
	s_and_b32 s1, exec_lo, s1
	s_delay_alu instid0(SALU_CYCLE_1)
	s_or_b32 s6, s1, s6
	s_wait_xcnt 0x0
	s_and_not1_b32 exec_lo, exec_lo, s6
	s_cbranch_execz .LBB5_59
.LBB5_49:                               ; =>This Inner Loop Header: Depth=1
	v_lshlrev_b64_e32 v[0:1], 4, v[0:1]
	s_and_not1_b32 vcc_lo, exec_lo, s4
	s_delay_alu instid0(VALU_DEP_1)
	v_add_nc_u64_e32 v[16:17], s[12:13], v[0:1]
	v_add_nc_u64_e32 v[18:19], s[10:11], v[0:1]
	global_load_b128 v[0:3], v[16:17], off
	global_load_b128 v[4:7], v[18:19], off
	s_cbranch_vccnz .LBB5_51
; %bb.50:                               ;   in Loop: Header=BB5_49 Depth=1
	global_load_b32 v8, v13, s[8:9]
	s_wait_loadcnt 0x0
	v_div_scale_f32 v9, null, v8, v8, v4
	s_delay_alu instid0(VALU_DEP_1) | instskip(SKIP_1) | instid1(TRANS32_DEP_1)
	v_rcp_f32_e32 v10, v9
	v_nop
	v_fma_f32 v11, -v9, v10, 1.0
	s_delay_alu instid0(VALU_DEP_1) | instskip(SKIP_1) | instid1(VALU_DEP_1)
	v_fmac_f32_e32 v10, v11, v10
	v_div_scale_f32 v11, vcc_lo, v4, v8, v4
	v_mul_f32_e32 v21, v11, v10
	s_delay_alu instid0(VALU_DEP_1) | instskip(NEXT) | instid1(VALU_DEP_1)
	v_fma_f32 v22, -v9, v21, v11
	v_fmac_f32_e32 v21, v22, v10
	s_delay_alu instid0(VALU_DEP_1) | instskip(NEXT) | instid1(VALU_DEP_1)
	v_fma_f32 v9, -v9, v21, v11
	v_div_fmas_f32 v9, v9, v10, v21
	s_delay_alu instid0(VALU_DEP_1)
	v_div_fixup_f32 v4, v9, v8, v4
.LBB5_51:                               ;   in Loop: Header=BB5_49 Depth=1
	s_and_not1_b32 vcc_lo, exec_lo, s4
	s_cbranch_vccnz .LBB5_53
; %bb.52:                               ;   in Loop: Header=BB5_49 Depth=1
	global_load_b32 v8, v13, s[8:9]
	s_wait_loadcnt 0x0
	v_div_scale_f32 v9, null, v8, v8, v5
	s_delay_alu instid0(VALU_DEP_1) | instskip(SKIP_1) | instid1(TRANS32_DEP_1)
	v_rcp_f32_e32 v10, v9
	v_nop
	v_fma_f32 v11, -v9, v10, 1.0
	s_delay_alu instid0(VALU_DEP_1) | instskip(SKIP_1) | instid1(VALU_DEP_1)
	v_fmac_f32_e32 v10, v11, v10
	v_div_scale_f32 v11, vcc_lo, v5, v8, v5
	v_mul_f32_e32 v21, v11, v10
	s_delay_alu instid0(VALU_DEP_1) | instskip(NEXT) | instid1(VALU_DEP_1)
	v_fma_f32 v22, -v9, v21, v11
	v_fmac_f32_e32 v21, v22, v10
	s_delay_alu instid0(VALU_DEP_1) | instskip(NEXT) | instid1(VALU_DEP_1)
	v_fma_f32 v9, -v9, v21, v11
	v_div_fmas_f32 v9, v9, v10, v21
	s_delay_alu instid0(VALU_DEP_1)
	v_div_fixup_f32 v5, v9, v8, v5
.LBB5_53:                               ;   in Loop: Header=BB5_49 Depth=1
	s_and_not1_b32 vcc_lo, exec_lo, s4
	s_cbranch_vccnz .LBB5_55
; %bb.54:                               ;   in Loop: Header=BB5_49 Depth=1
	global_load_b32 v8, v13, s[8:9]
	s_wait_loadcnt 0x0
	v_div_scale_f32 v9, null, v8, v8, v6
	s_delay_alu instid0(VALU_DEP_1) | instskip(SKIP_1) | instid1(TRANS32_DEP_1)
	v_rcp_f32_e32 v10, v9
	v_nop
	v_fma_f32 v11, -v9, v10, 1.0
	s_delay_alu instid0(VALU_DEP_1) | instskip(SKIP_1) | instid1(VALU_DEP_1)
	v_fmac_f32_e32 v10, v11, v10
	v_div_scale_f32 v11, vcc_lo, v6, v8, v6
	v_mul_f32_e32 v21, v11, v10
	s_delay_alu instid0(VALU_DEP_1) | instskip(NEXT) | instid1(VALU_DEP_1)
	v_fma_f32 v22, -v9, v21, v11
	v_fmac_f32_e32 v21, v22, v10
	s_delay_alu instid0(VALU_DEP_1) | instskip(NEXT) | instid1(VALU_DEP_1)
	v_fma_f32 v9, -v9, v21, v11
	v_div_fmas_f32 v9, v9, v10, v21
	s_delay_alu instid0(VALU_DEP_1)
	v_div_fixup_f32 v6, v9, v8, v6
.LBB5_55:                               ;   in Loop: Header=BB5_49 Depth=1
	s_wait_loadcnt 0x0
	s_delay_alu instid0(VALU_DEP_1) | instskip(NEXT) | instid1(VALU_DEP_2)
	v_dual_cndmask_b32 v8, v5, -v5, s7 :: v_dual_cndmask_b32 v9, v4, -v4, s7
	v_cndmask_b32_e64 v10, v6, -v6, s7
	s_and_not1_b32 vcc_lo, exec_lo, s4
	s_delay_alu instid0(VALU_DEP_2) | instskip(NEXT) | instid1(VALU_DEP_2)
	v_dual_fma_f32 v11, v1, v27, v8 :: v_dual_fma_f32 v21, v0, v27, v9
	v_fma_f32 v22, v2, v27, v10
	s_delay_alu instid0(VALU_DEP_2) | instskip(NEXT) | instid1(VALU_DEP_2)
	v_dual_cndmask_b32 v8, v8, v11, s0 :: v_dual_cndmask_b32 v11, v9, v21, s0
	v_cndmask_b32_e64 v10, v10, v22, s0
	s_delay_alu instid0(VALU_DEP_2) | instskip(NEXT) | instid1(VALU_DEP_2)
	v_dual_fma_f32 v9, -v26, v8, v1 :: v_dual_fma_f32 v8, -v26, v11, v0
	v_fma_f32 v10, -v26, v10, v2
	s_cbranch_vccnz .LBB5_57
; %bb.56:                               ;   in Loop: Header=BB5_49 Depth=1
	global_load_b32 v0, v13, s[8:9]
	v_mov_b32_e32 v24, v6
	v_mov_b32_e32 v23, v5
	s_wait_loadcnt 0x0
	v_div_scale_f32 v1, null, v0, v0, v7
	v_div_scale_f32 v21, vcc_lo, v7, v0, v7
	s_delay_alu instid0(VALU_DEP_2) | instskip(SKIP_1) | instid1(TRANS32_DEP_1)
	v_rcp_f32_e32 v2, v1
	v_nop
	v_fma_f32 v11, -v1, v2, 1.0
	s_delay_alu instid0(VALU_DEP_1) | instskip(NEXT) | instid1(VALU_DEP_1)
	v_fmac_f32_e32 v2, v11, v2
	v_mul_f32_e32 v11, v21, v2
	s_delay_alu instid0(VALU_DEP_1) | instskip(NEXT) | instid1(VALU_DEP_1)
	v_fma_f32 v22, -v1, v11, v21
	v_dual_fmac_f32 v11, v22, v2 :: v_dual_mov_b32 v22, v4
	s_delay_alu instid0(VALU_DEP_1) | instskip(NEXT) | instid1(VALU_DEP_1)
	v_fma_f32 v1, -v1, v11, v21
	v_div_fmas_f32 v1, v1, v2, v11
	s_delay_alu instid0(VALU_DEP_1) | instskip(NEXT) | instid1(VALU_DEP_1)
	v_div_fixup_f32 v25, v1, v0, v7
	v_cndmask_b32_e64 v0, v25, -v25, s7
	s_delay_alu instid0(VALU_DEP_1) | instskip(NEXT) | instid1(VALU_DEP_1)
	v_fma_f32 v1, v3, v27, v0
	v_cndmask_b32_e64 v0, v0, v1, s0
	s_delay_alu instid0(VALU_DEP_1)
	v_fma_f32 v11, -v26, v0, v3
	global_store_b128 v[16:17], v[8:11], off
	global_store_b128 v[18:19], v[22:25], off
	s_cbranch_execnz .LBB5_48
	s_branch .LBB5_58
.LBB5_57:                               ;   in Loop: Header=BB5_49 Depth=1
.LBB5_58:                               ;   in Loop: Header=BB5_49 Depth=1
	v_cndmask_b32_e64 v0, v7, -v7, s7
	s_delay_alu instid0(VALU_DEP_1) | instskip(NEXT) | instid1(VALU_DEP_1)
	v_fma_f32 v1, v3, v27, v0
	v_cndmask_b32_e64 v0, v0, v1, s0
	s_wait_xcnt 0x1
	s_delay_alu instid0(VALU_DEP_1)
	v_fma_f32 v11, -v26, v0, v3
	global_store_b128 v[16:17], v[8:11], off
	s_branch .LBB5_48
.LBB5_59:
	s_endpgm
.LBB5_60:
                                        ; implicit-def: $sgpr2
	s_load_b32 s14, s[10:11], 0x740
	v_mov_b32_e32 v26, s2
	s_branch .LBB5_5
	.section	.rodata,"a",@progbits
	.p2align	6, 0x0
	.amdhsa_kernel _ZN2at6native12_GLOBAL__N_125multi_tensor_apply_kernelINS1_18TensorListMetadataILi2EEENS1_19FusedSgdMathFunctorIfLi2EEEJddPfddbbbS7_S7_EEEvT_T0_DpT1_
		.amdhsa_group_segment_fixed_size 0
		.amdhsa_private_segment_fixed_size 0
		.amdhsa_kernarg_size 3472
		.amdhsa_user_sgpr_count 2
		.amdhsa_user_sgpr_dispatch_ptr 0
		.amdhsa_user_sgpr_queue_ptr 0
		.amdhsa_user_sgpr_kernarg_segment_ptr 1
		.amdhsa_user_sgpr_dispatch_id 0
		.amdhsa_user_sgpr_kernarg_preload_length 0
		.amdhsa_user_sgpr_kernarg_preload_offset 0
		.amdhsa_user_sgpr_private_segment_size 0
		.amdhsa_wavefront_size32 1
		.amdhsa_uses_dynamic_stack 0
		.amdhsa_enable_private_segment 0
		.amdhsa_system_sgpr_workgroup_id_x 1
		.amdhsa_system_sgpr_workgroup_id_y 0
		.amdhsa_system_sgpr_workgroup_id_z 0
		.amdhsa_system_sgpr_workgroup_info 0
		.amdhsa_system_vgpr_workitem_id 0
		.amdhsa_next_free_vgpr 42
		.amdhsa_next_free_sgpr 30
		.amdhsa_named_barrier_count 0
		.amdhsa_reserve_vcc 1
		.amdhsa_float_round_mode_32 0
		.amdhsa_float_round_mode_16_64 0
		.amdhsa_float_denorm_mode_32 3
		.amdhsa_float_denorm_mode_16_64 3
		.amdhsa_fp16_overflow 0
		.amdhsa_memory_ordered 1
		.amdhsa_forward_progress 1
		.amdhsa_inst_pref_size 23
		.amdhsa_round_robin_scheduling 0
		.amdhsa_exception_fp_ieee_invalid_op 0
		.amdhsa_exception_fp_denorm_src 0
		.amdhsa_exception_fp_ieee_div_zero 0
		.amdhsa_exception_fp_ieee_overflow 0
		.amdhsa_exception_fp_ieee_underflow 0
		.amdhsa_exception_fp_ieee_inexact 0
		.amdhsa_exception_int_div_zero 0
	.end_amdhsa_kernel
	.section	.text._ZN2at6native12_GLOBAL__N_125multi_tensor_apply_kernelINS1_18TensorListMetadataILi2EEENS1_19FusedSgdMathFunctorIfLi2EEEJddPfddbbbS7_S7_EEEvT_T0_DpT1_,"axG",@progbits,_ZN2at6native12_GLOBAL__N_125multi_tensor_apply_kernelINS1_18TensorListMetadataILi2EEENS1_19FusedSgdMathFunctorIfLi2EEEJddPfddbbbS7_S7_EEEvT_T0_DpT1_,comdat
.Lfunc_end5:
	.size	_ZN2at6native12_GLOBAL__N_125multi_tensor_apply_kernelINS1_18TensorListMetadataILi2EEENS1_19FusedSgdMathFunctorIfLi2EEEJddPfddbbbS7_S7_EEEvT_T0_DpT1_, .Lfunc_end5-_ZN2at6native12_GLOBAL__N_125multi_tensor_apply_kernelINS1_18TensorListMetadataILi2EEENS1_19FusedSgdMathFunctorIfLi2EEEJddPfddbbbS7_S7_EEEvT_T0_DpT1_
                                        ; -- End function
	.set _ZN2at6native12_GLOBAL__N_125multi_tensor_apply_kernelINS1_18TensorListMetadataILi2EEENS1_19FusedSgdMathFunctorIfLi2EEEJddPfddbbbS7_S7_EEEvT_T0_DpT1_.num_vgpr, 42
	.set _ZN2at6native12_GLOBAL__N_125multi_tensor_apply_kernelINS1_18TensorListMetadataILi2EEENS1_19FusedSgdMathFunctorIfLi2EEEJddPfddbbbS7_S7_EEEvT_T0_DpT1_.num_agpr, 0
	.set _ZN2at6native12_GLOBAL__N_125multi_tensor_apply_kernelINS1_18TensorListMetadataILi2EEENS1_19FusedSgdMathFunctorIfLi2EEEJddPfddbbbS7_S7_EEEvT_T0_DpT1_.numbered_sgpr, 30
	.set _ZN2at6native12_GLOBAL__N_125multi_tensor_apply_kernelINS1_18TensorListMetadataILi2EEENS1_19FusedSgdMathFunctorIfLi2EEEJddPfddbbbS7_S7_EEEvT_T0_DpT1_.num_named_barrier, 0
	.set _ZN2at6native12_GLOBAL__N_125multi_tensor_apply_kernelINS1_18TensorListMetadataILi2EEENS1_19FusedSgdMathFunctorIfLi2EEEJddPfddbbbS7_S7_EEEvT_T0_DpT1_.private_seg_size, 0
	.set _ZN2at6native12_GLOBAL__N_125multi_tensor_apply_kernelINS1_18TensorListMetadataILi2EEENS1_19FusedSgdMathFunctorIfLi2EEEJddPfddbbbS7_S7_EEEvT_T0_DpT1_.uses_vcc, 1
	.set _ZN2at6native12_GLOBAL__N_125multi_tensor_apply_kernelINS1_18TensorListMetadataILi2EEENS1_19FusedSgdMathFunctorIfLi2EEEJddPfddbbbS7_S7_EEEvT_T0_DpT1_.uses_flat_scratch, 0
	.set _ZN2at6native12_GLOBAL__N_125multi_tensor_apply_kernelINS1_18TensorListMetadataILi2EEENS1_19FusedSgdMathFunctorIfLi2EEEJddPfddbbbS7_S7_EEEvT_T0_DpT1_.has_dyn_sized_stack, 0
	.set _ZN2at6native12_GLOBAL__N_125multi_tensor_apply_kernelINS1_18TensorListMetadataILi2EEENS1_19FusedSgdMathFunctorIfLi2EEEJddPfddbbbS7_S7_EEEvT_T0_DpT1_.has_recursion, 0
	.set _ZN2at6native12_GLOBAL__N_125multi_tensor_apply_kernelINS1_18TensorListMetadataILi2EEENS1_19FusedSgdMathFunctorIfLi2EEEJddPfddbbbS7_S7_EEEvT_T0_DpT1_.has_indirect_call, 0
	.section	.AMDGPU.csdata,"",@progbits
; Kernel info:
; codeLenInByte = 2916
; TotalNumSgprs: 32
; NumVgprs: 42
; ScratchSize: 0
; MemoryBound: 0
; FloatMode: 240
; IeeeMode: 1
; LDSByteSize: 0 bytes/workgroup (compile time only)
; SGPRBlocks: 0
; VGPRBlocks: 2
; NumSGPRsForWavesPerEU: 32
; NumVGPRsForWavesPerEU: 42
; NamedBarCnt: 0
; Occupancy: 16
; WaveLimiterHint : 0
; COMPUTE_PGM_RSRC2:SCRATCH_EN: 0
; COMPUTE_PGM_RSRC2:USER_SGPR: 2
; COMPUTE_PGM_RSRC2:TRAP_HANDLER: 0
; COMPUTE_PGM_RSRC2:TGID_X_EN: 1
; COMPUTE_PGM_RSRC2:TGID_Y_EN: 0
; COMPUTE_PGM_RSRC2:TGID_Z_EN: 0
; COMPUTE_PGM_RSRC2:TIDIG_COMP_CNT: 0
	.section	.text._ZN2at6native12_GLOBAL__N_125multi_tensor_apply_kernelINS1_18TensorListMetadataILi2EEENS1_19FusedSgdMathFunctorIN3c104HalfELi2EEEJddPfddbbbS9_S9_EEEvT_T0_DpT1_,"axG",@progbits,_ZN2at6native12_GLOBAL__N_125multi_tensor_apply_kernelINS1_18TensorListMetadataILi2EEENS1_19FusedSgdMathFunctorIN3c104HalfELi2EEEJddPfddbbbS9_S9_EEEvT_T0_DpT1_,comdat
	.globl	_ZN2at6native12_GLOBAL__N_125multi_tensor_apply_kernelINS1_18TensorListMetadataILi2EEENS1_19FusedSgdMathFunctorIN3c104HalfELi2EEEJddPfddbbbS9_S9_EEEvT_T0_DpT1_ ; -- Begin function _ZN2at6native12_GLOBAL__N_125multi_tensor_apply_kernelINS1_18TensorListMetadataILi2EEENS1_19FusedSgdMathFunctorIN3c104HalfELi2EEEJddPfddbbbS9_S9_EEEvT_T0_DpT1_
	.p2align	8
	.type	_ZN2at6native12_GLOBAL__N_125multi_tensor_apply_kernelINS1_18TensorListMetadataILi2EEENS1_19FusedSgdMathFunctorIN3c104HalfELi2EEEJddPfddbbbS9_S9_EEEvT_T0_DpT1_,@function
_ZN2at6native12_GLOBAL__N_125multi_tensor_apply_kernelINS1_18TensorListMetadataILi2EEENS1_19FusedSgdMathFunctorIN3c104HalfELi2EEEJddPfddbbbS9_S9_EEEvT_T0_DpT1_: ; @_ZN2at6native12_GLOBAL__N_125multi_tensor_apply_kernelINS1_18TensorListMetadataILi2EEENS1_19FusedSgdMathFunctorIN3c104HalfELi2EEEJddPfddbbbS9_S9_EEEvT_T0_DpT1_
; %bb.0:
	s_load_b128 s[8:11], s[0:1], 0xc80
	s_wait_kmcnt 0x0
	s_cmp_eq_u64 s[10:11], 0
	s_cselect_b32 s2, -1, 0
	s_delay_alu instid0(SALU_CYCLE_1)
	s_and_b32 vcc_lo, exec_lo, s2
	s_cbranch_vccnz .LBB6_2
; %bb.1:
	s_load_b32 s2, s[10:11], 0x0
	s_wait_kmcnt 0x0
	s_cmp_neq_f32 s2, 1.0
	s_cselect_b32 s2, -1, 0
.LBB6_2:
	s_delay_alu instid0(SALU_CYCLE_1)
	s_and_not1_b32 vcc_lo, exec_lo, s2
	s_cbranch_vccnz .LBB6_59
; %bb.3:
	s_bfe_u32 s2, ttmp6, 0x4000c
	s_and_b32 s3, ttmp6, 15
	s_add_co_i32 s2, s2, 1
	s_getreg_b32 s4, hwreg(HW_REG_IB_STS2, 6, 4)
	s_mul_i32 s2, ttmp9, s2
	s_delay_alu instid0(SALU_CYCLE_1)
	s_add_co_i32 s3, s3, s2
	s_cmp_eq_u32 s4, 0
	s_load_b128 s[4:7], s[0:1], 0xc60
	s_cselect_b32 s2, ttmp9, s3
	s_mov_b32 s3, 0
	v_mov_b32_e32 v1, s2
	s_add_nc_u64 s[10:11], s[0:1], s[2:3]
	s_mul_u64 s[14:15], s[2:3], 3
	s_delay_alu instid0(SALU_CYCLE_1)
	s_add_nc_u64 s[10:11], s[10:11], s[14:15]
	global_load_u8 v1, v1, s[0:1] offset:1536
	s_wait_kmcnt 0x0
	s_cmp_eq_u64 s[4:5], 0
	s_wait_loadcnt 0x0
	v_readfirstlane_b32 s12, v1
	s_cbranch_scc1 .LBB6_60
; %bb.4:
	s_load_b32 s2, s[4:5], 0x0
	s_load_b32 s14, s[10:11], 0x740
	s_wait_kmcnt 0x0
	v_mov_b32_e32 v26, s2
	s_and_not1_b32 vcc_lo, exec_lo, s3
	s_cbranch_vccnz .LBB6_6
.LBB6_5:
	v_cvt_f32_f64_e32 v26, s[6:7]
.LBB6_6:
	s_load_b32 s2, s[0:1], 0xc78
	s_wait_xcnt 0x0
	s_load_b64 s[10:11], s[0:1], 0xc50
	s_mov_b32 s21, 0
	s_wait_kmcnt 0x0
	s_bitcmp1_b32 s2, 8
	v_cvt_f32_f64_e32 v27, s[10:11]
	s_cselect_b32 s7, -1, 0
	s_and_b32 s6, s12, 0xff
	s_clause 0x2
	s_load_b64 s[18:19], s[0:1], s6 offset:0x400 scale_offset
	s_load_b64 s[2:3], s[0:1], s6 offset:0x0 scale_offset
	;; [unrolled: 1-line block ×3, first 2 shown]
	s_ashr_i32 s15, s14, 31
	s_wait_xcnt 0x0
	s_mov_b32 s6, -1
	s_lshl_b64 s[16:17], s[14:15], 17
	s_lshl_b64 s[14:15], s[14:15], 16
	s_wait_kmcnt 0x0
	s_and_b64 s[22:23], s[18:19], 3
	s_add_nc_u64 s[12:13], s[2:3], s[16:17]
	s_add_nc_u64 s[10:11], s[4:5], s[16:17]
	s_and_b64 s[24:25], s[12:13], 7
	s_and_b32 s20, s10, 7
	s_sub_nc_u64 s[14:15], s[18:19], s[14:15]
	s_or_b64 s[20:21], s[22:23], s[20:21]
	s_delay_alu instid0(SALU_CYCLE_1) | instskip(NEXT) | instid1(SALU_CYCLE_1)
	s_or_b64 s[20:21], s[20:21], s[24:25]
	s_cmp_eq_u64 s[20:21], 0
	s_cbranch_scc1 .LBB6_45
; %bb.7:
	v_cmp_lt_i64_e64 s6, s[14:15], 1
	s_and_b32 vcc_lo, exec_lo, s6
	s_cbranch_vccnz .LBB6_44
; %bb.8:
	s_load_b32 s6, s[0:1], 0xc9c
	v_min_i64 v[2:3], 0x10000, s[14:15]
	v_dual_mov_b32 v1, 0 :: v_dual_lshlrev_b32 v8, 1, v0
	s_mov_b32 s23, 0
	s_delay_alu instid0(SALU_CYCLE_1) | instskip(NEXT) | instid1(VALU_DEP_1)
	s_mov_b32 s19, s23
	v_dual_mov_b32 v9, v1 :: v_dual_mov_b32 v25, v1
	s_mov_b32 s21, s23
	s_mov_b32 s27, s23
	s_delay_alu instid0(VALU_DEP_1) | instskip(SKIP_2) | instid1(SALU_CYCLE_1)
	v_add_nc_u64_e32 v[4:5], s[2:3], v[8:9]
	s_wait_kmcnt 0x0
	s_and_b32 s22, s6, 0xffff
	s_lshl_b32 s20, s22, 1
	v_add_nc_u64_e32 v[6:7], s[22:23], v[0:1]
	v_mad_nc_u64_u32 v[16:17], s22, 6, v[8:9]
	s_cmp_lg_u64 s[8:9], 0
	s_mul_i32 s26, s22, 3
	s_cselect_b32 s24, -1, 0
	s_lshl_b32 s18, s22, 2
	v_add_nc_u64_e32 v[10:11], s[26:27], v[0:1]
	v_add_nc_u64_e32 v[20:21], s[18:19], v[8:9]
	v_lshlrev_b32_e32 v24, 1, v6
	v_add_nc_u64_e32 v[8:9], s[4:5], v[8:9]
	v_add_nc_u64_e32 v[12:13], s[20:21], v[0:1]
	s_mov_b64 s[20:21], 0
	v_add_nc_u64_e32 v[14:15], s[2:3], v[16:17]
	v_add_nc_u64_e32 v[16:17], s[4:5], v[16:17]
	;; [unrolled: 1-line block ×6, first 2 shown]
	v_cmp_neq_f32_e64 s2, 0, v27
	s_lshl_b32 s22, s22, 3
	s_branch .LBB6_11
.LBB6_9:                                ;   in Loop: Header=BB6_11 Depth=1
	s_wait_xcnt 0x0
	s_or_b32 exec_lo, exec_lo, s3
.LBB6_10:                               ;   in Loop: Header=BB6_11 Depth=1
	s_add_nc_u64 s[20:21], s[20:21], s[18:19]
	v_add_nc_u64_e32 v[4:5], s[22:23], v[4:5]
	v_cmp_lt_i64_e32 vcc_lo, s[20:21], v[2:3]
	v_add_nc_u64_e32 v[8:9], s[22:23], v[8:9]
	v_add_nc_u64_e32 v[14:15], s[22:23], v[14:15]
	;; [unrolled: 1-line block ×7, first 2 shown]
	s_cbranch_vccz .LBB6_44
.LBB6_11:                               ; =>This Inner Loop Header: Depth=1
	v_add_nc_u64_e32 v[28:29], s[20:21], v[0:1]
	v_mov_b32_e32 v32, 0
	s_delay_alu instid0(VALU_DEP_2)
	v_cmp_lt_i64_e64 s3, v[28:29], v[2:3]
	v_dual_mov_b32 v28, 0 :: v_dual_mov_b32 v29, 0
	s_and_saveexec_b32 s4, s3
	s_cbranch_execz .LBB6_13
; %bb.12:                               ;   in Loop: Header=BB6_11 Depth=1
	v_add_nc_u64_e32 v[30:31], s[16:17], v[4:5]
	v_add_nc_u64_e32 v[32:33], s[16:17], v[8:9]
	global_load_u16 v34, v[30:31], off
	global_load_u16 v29, v[32:33], off
	s_wait_loadcnt 0x1
	s_wait_xcnt 0x0
	v_cvt_f32_f16_e32 v32, v34
.LBB6_13:                               ;   in Loop: Header=BB6_11 Depth=1
	s_or_b32 exec_lo, exec_lo, s4
	v_add_nc_u64_e32 v[30:31], s[20:21], v[6:7]
	v_mov_b32_e32 v33, 0
	s_delay_alu instid0(VALU_DEP_2)
	v_cmp_lt_i64_e64 s4, v[30:31], v[2:3]
	s_and_saveexec_b32 s5, s4
	s_cbranch_execz .LBB6_15
; %bb.14:                               ;   in Loop: Header=BB6_11 Depth=1
	v_add_nc_u64_e32 v[30:31], s[16:17], v[22:23]
	v_add_nc_u64_e32 v[34:35], s[16:17], v[24:25]
	global_load_u16 v33, v[30:31], off
	global_load_u16 v28, v[34:35], off
	s_wait_loadcnt 0x1
	v_cvt_f32_f16_e32 v33, v33
.LBB6_15:                               ;   in Loop: Header=BB6_11 Depth=1
	s_wait_xcnt 0x0
	s_or_b32 exec_lo, exec_lo, s5
	v_add_nc_u64_e32 v[30:31], s[20:21], v[12:13]
	v_mov_b32_e32 v34, 0
	s_delay_alu instid0(VALU_DEP_2)
	v_cmp_lt_i64_e64 s5, v[30:31], v[2:3]
	v_dual_mov_b32 v30, 0 :: v_dual_mov_b32 v31, 0
	s_and_saveexec_b32 s6, s5
	s_cbranch_execz .LBB6_17
; %bb.16:                               ;   in Loop: Header=BB6_11 Depth=1
	v_add_nc_u64_e32 v[34:35], s[16:17], v[18:19]
	v_add_nc_u64_e32 v[36:37], s[16:17], v[20:21]
	global_load_u16 v38, v[34:35], off
	global_load_u16 v31, v[36:37], off
	s_wait_loadcnt 0x1
	s_wait_xcnt 0x1
	v_cvt_f32_f16_e32 v34, v38
.LBB6_17:                               ;   in Loop: Header=BB6_11 Depth=1
	s_wait_xcnt 0x0
	s_or_b32 exec_lo, exec_lo, s6
	v_add_nc_u64_e32 v[36:37], s[20:21], v[10:11]
	v_mov_b32_e32 v35, 0
	s_delay_alu instid0(VALU_DEP_2)
	v_cmp_lt_i64_e64 s6, v[36:37], v[2:3]
	s_and_saveexec_b32 s25, s6
	s_cbranch_execz .LBB6_19
; %bb.18:                               ;   in Loop: Header=BB6_11 Depth=1
	v_add_nc_u64_e32 v[36:37], s[16:17], v[14:15]
	v_add_nc_u64_e32 v[38:39], s[16:17], v[16:17]
	global_load_u16 v35, v[36:37], off
	global_load_u16 v30, v[38:39], off
	s_wait_loadcnt 0x1
	v_cvt_f32_f16_e32 v35, v35
.LBB6_19:                               ;   in Loop: Header=BB6_11 Depth=1
	s_wait_xcnt 0x0
	s_or_b32 exec_lo, exec_lo, s25
	s_wait_loadcnt 0x0
	v_cvt_f32_f16_e32 v36, v29
	s_and_not1_b32 vcc_lo, exec_lo, s24
	s_cbranch_vccnz .LBB6_21
; %bb.20:                               ;   in Loop: Header=BB6_11 Depth=1
	s_load_b32 s25, s[8:9], 0x0
	s_wait_kmcnt 0x0
	v_div_scale_f32 v29, null, s25, s25, v36
	s_delay_alu instid0(VALU_DEP_1) | instskip(SKIP_1) | instid1(TRANS32_DEP_1)
	v_rcp_f32_e32 v37, v29
	v_nop
	v_fma_f32 v38, -v29, v37, 1.0
	s_delay_alu instid0(VALU_DEP_1) | instskip(SKIP_1) | instid1(VALU_DEP_1)
	v_fmac_f32_e32 v37, v38, v37
	v_div_scale_f32 v38, vcc_lo, v36, s25, v36
	v_mul_f32_e32 v39, v38, v37
	s_delay_alu instid0(VALU_DEP_1) | instskip(NEXT) | instid1(VALU_DEP_1)
	v_fma_f32 v40, -v29, v39, v38
	v_fmac_f32_e32 v39, v40, v37
	s_delay_alu instid0(VALU_DEP_1) | instskip(NEXT) | instid1(VALU_DEP_1)
	v_fma_f32 v29, -v29, v39, v38
	v_div_fmas_f32 v29, v29, v37, v39
	s_delay_alu instid0(VALU_DEP_1) | instskip(NEXT) | instid1(VALU_DEP_1)
	v_div_fixup_f32 v36, v29, s25, v36
	v_cvt_f16_f32_e32 v29, v36
.LBB6_21:                               ;   in Loop: Header=BB6_11 Depth=1
	v_cvt_f32_f16_e32 v37, v28
	s_and_not1_b32 vcc_lo, exec_lo, s24
	s_cbranch_vccnz .LBB6_23
; %bb.22:                               ;   in Loop: Header=BB6_11 Depth=1
	s_load_b32 s25, s[8:9], 0x0
	s_wait_kmcnt 0x0
	v_div_scale_f32 v28, null, s25, s25, v37
	s_delay_alu instid0(VALU_DEP_1) | instskip(SKIP_1) | instid1(TRANS32_DEP_1)
	v_rcp_f32_e32 v38, v28
	v_nop
	v_fma_f32 v39, -v28, v38, 1.0
	s_delay_alu instid0(VALU_DEP_1) | instskip(SKIP_1) | instid1(VALU_DEP_1)
	v_fmac_f32_e32 v38, v39, v38
	v_div_scale_f32 v39, vcc_lo, v37, s25, v37
	v_mul_f32_e32 v40, v39, v38
	s_delay_alu instid0(VALU_DEP_1) | instskip(NEXT) | instid1(VALU_DEP_1)
	v_fma_f32 v41, -v28, v40, v39
	v_fmac_f32_e32 v40, v41, v38
	s_delay_alu instid0(VALU_DEP_1) | instskip(NEXT) | instid1(VALU_DEP_1)
	v_fma_f32 v28, -v28, v40, v39
	v_div_fmas_f32 v28, v28, v38, v40
	s_delay_alu instid0(VALU_DEP_1) | instskip(NEXT) | instid1(VALU_DEP_1)
	v_div_fixup_f32 v37, v28, s25, v37
	v_cvt_f16_f32_e32 v28, v37
.LBB6_23:                               ;   in Loop: Header=BB6_11 Depth=1
	;; [unrolled: 25-line block ×4, first 2 shown]
	s_and_saveexec_b32 s25, s3
	s_cbranch_execnz .LBB6_32
; %bb.28:                               ;   in Loop: Header=BB6_11 Depth=1
	s_or_b32 exec_lo, exec_lo, s25
	s_and_saveexec_b32 s25, s4
	s_cbranch_execnz .LBB6_33
.LBB6_29:                               ;   in Loop: Header=BB6_11 Depth=1
	s_or_b32 exec_lo, exec_lo, s25
	s_and_saveexec_b32 s25, s5
	s_cbranch_execnz .LBB6_34
.LBB6_30:                               ;   in Loop: Header=BB6_11 Depth=1
	s_or_b32 exec_lo, exec_lo, s25
	s_and_saveexec_b32 s25, s6
	s_cbranch_execnz .LBB6_35
.LBB6_31:                               ;   in Loop: Header=BB6_11 Depth=1
	s_or_b32 exec_lo, exec_lo, s25
	s_delay_alu instid0(SALU_CYCLE_1)
	s_and_not1_b32 vcc_lo, exec_lo, s24
	s_cbranch_vccz .LBB6_36
	s_branch .LBB6_10
.LBB6_32:                               ;   in Loop: Header=BB6_11 Depth=1
	v_cndmask_b32_e64 v36, v36, -v36, s7
	s_delay_alu instid0(VALU_DEP_1) | instskip(NEXT) | instid1(VALU_DEP_1)
	v_fma_f32 v40, v32, v27, v36
	v_cndmask_b32_e64 v36, v36, v40, s2
	v_add_nc_u64_e32 v[40:41], s[16:17], v[4:5]
	s_delay_alu instid0(VALU_DEP_2)
	v_fma_mixlo_f16 v32, -v26, v36, v32
	global_store_b16 v[40:41], v32, off
	s_wait_xcnt 0x0
	s_or_b32 exec_lo, exec_lo, s25
	s_and_saveexec_b32 s25, s4
	s_cbranch_execz .LBB6_29
.LBB6_33:                               ;   in Loop: Header=BB6_11 Depth=1
	v_cndmask_b32_e64 v32, v37, -v37, s7
	s_delay_alu instid0(VALU_DEP_1) | instskip(NEXT) | instid1(VALU_DEP_1)
	v_fma_f32 v36, v33, v27, v32
	v_cndmask_b32_e64 v32, v32, v36, s2
	v_add_nc_u64_e32 v[36:37], s[16:17], v[22:23]
	s_delay_alu instid0(VALU_DEP_2)
	v_fma_mixlo_f16 v32, -v26, v32, v33
	global_store_b16 v[36:37], v32, off
	s_wait_xcnt 0x0
	s_or_b32 exec_lo, exec_lo, s25
	s_and_saveexec_b32 s25, s5
	s_cbranch_execz .LBB6_30
.LBB6_34:                               ;   in Loop: Header=BB6_11 Depth=1
	v_cndmask_b32_e64 v32, v38, -v38, s7
	s_delay_alu instid0(VALU_DEP_1) | instskip(NEXT) | instid1(VALU_DEP_1)
	v_fma_f32 v33, v34, v27, v32
	v_cndmask_b32_e64 v36, v32, v33, s2
	v_add_nc_u64_e32 v[32:33], s[16:17], v[18:19]
	s_delay_alu instid0(VALU_DEP_2)
	v_fma_mixlo_f16 v34, -v26, v36, v34
	global_store_b16 v[32:33], v34, off
	s_wait_xcnt 0x0
	s_or_b32 exec_lo, exec_lo, s25
	s_and_saveexec_b32 s25, s6
	s_cbranch_execz .LBB6_31
.LBB6_35:                               ;   in Loop: Header=BB6_11 Depth=1
	v_cndmask_b32_e64 v32, v39, -v39, s7
	s_delay_alu instid0(VALU_DEP_1) | instskip(NEXT) | instid1(VALU_DEP_1)
	v_fma_f32 v33, v35, v27, v32
	v_cndmask_b32_e64 v34, v32, v33, s2
	v_add_nc_u64_e32 v[32:33], s[16:17], v[14:15]
	s_delay_alu instid0(VALU_DEP_2) | instskip(SKIP_3) | instid1(SALU_CYCLE_1)
	v_fma_mixlo_f16 v34, -v26, v34, v35
	global_store_b16 v[32:33], v34, off
	s_wait_xcnt 0x0
	s_or_b32 exec_lo, exec_lo, s25
	s_and_not1_b32 vcc_lo, exec_lo, s24
	s_cbranch_vccnz .LBB6_10
.LBB6_36:                               ;   in Loop: Header=BB6_11 Depth=1
	s_and_saveexec_b32 s25, s3
	s_cbranch_execnz .LBB6_40
; %bb.37:                               ;   in Loop: Header=BB6_11 Depth=1
	s_or_b32 exec_lo, exec_lo, s25
	s_and_saveexec_b32 s3, s4
	s_cbranch_execnz .LBB6_41
.LBB6_38:                               ;   in Loop: Header=BB6_11 Depth=1
	s_or_b32 exec_lo, exec_lo, s3
	s_and_saveexec_b32 s3, s5
	s_cbranch_execnz .LBB6_42
.LBB6_39:                               ;   in Loop: Header=BB6_11 Depth=1
	s_or_b32 exec_lo, exec_lo, s3
	s_and_saveexec_b32 s3, s6
	s_cbranch_execz .LBB6_9
	s_branch .LBB6_43
.LBB6_40:                               ;   in Loop: Header=BB6_11 Depth=1
	v_add_nc_u64_e32 v[32:33], s[16:17], v[8:9]
	global_store_b16 v[32:33], v29, off
	s_wait_xcnt 0x0
	s_or_b32 exec_lo, exec_lo, s25
	s_and_saveexec_b32 s3, s4
	s_cbranch_execz .LBB6_38
.LBB6_41:                               ;   in Loop: Header=BB6_11 Depth=1
	v_add_nc_u64_e32 v[32:33], s[16:17], v[24:25]
	global_store_b16 v[32:33], v28, off
	s_wait_xcnt 0x0
	s_or_b32 exec_lo, exec_lo, s3
	s_and_saveexec_b32 s3, s5
	s_cbranch_execz .LBB6_39
.LBB6_42:                               ;   in Loop: Header=BB6_11 Depth=1
	v_add_nc_u64_e32 v[28:29], s[16:17], v[20:21]
	global_store_b16 v[28:29], v31, off
	s_wait_xcnt 0x0
	s_or_b32 exec_lo, exec_lo, s3
	s_and_saveexec_b32 s3, s6
	s_cbranch_execz .LBB6_9
.LBB6_43:                               ;   in Loop: Header=BB6_11 Depth=1
	v_add_nc_u64_e32 v[28:29], s[16:17], v[16:17]
	global_store_b16 v[28:29], v30, off
	s_branch .LBB6_9
.LBB6_44:
	s_mov_b32 s6, 0
.LBB6_45:
	s_delay_alu instid0(SALU_CYCLE_1)
	s_and_not1_b32 vcc_lo, exec_lo, s6
	s_cbranch_vccnz .LBB6_59
; %bb.46:
	v_dual_mov_b32 v3, 0 :: v_dual_lshlrev_b32 v2, 2, v0
	s_mov_b32 s2, exec_lo
	s_delay_alu instid0(VALU_DEP_1)
	v_cmpx_gt_i64_e64 s[14:15], v[2:3]
	s_cbranch_execz .LBB6_59
; %bb.47:
	s_load_b32 s0, s[0:1], 0xc9c
	s_cmp_lg_u64 s[8:9], 0
	s_mov_b32 s3, 0
	s_cselect_b32 s4, -1, 0
	s_mov_b32 s6, s3
	s_wait_kmcnt 0x0
	s_and_b32 s5, s0, 0xffff
	s_delay_alu instid0(SALU_CYCLE_1)
	v_dual_mov_b32 v1, v3 :: v_dual_add_nc_u32 v12, s5, v0
	v_add_lshl_u32 v2, v0, s5, 2
	s_wait_xcnt 0x0
	v_cmp_neq_f32_e64 s0, 0, v27
	s_lshl_b32 s2, s5, 2
	v_mov_b64_e32 v[4:5], v[2:3]
	v_mov_b32_e32 v2, v0
	s_branch .LBB6_49
.LBB6_48:                               ;   in Loop: Header=BB6_49 Depth=1
	v_cmp_le_u64_e32 vcc_lo, s[14:15], v[4:5]
	v_add_nc_u32_e32 v2, s5, v2
	v_cmp_lt_u32_e64 s1, 0x3fff, v12
	v_add_nc_u32_e32 v12, s5, v12
	v_add_nc_u64_e32 v[4:5], s[2:3], v[4:5]
	s_wait_xcnt 0x0
	v_mov_b64_e32 v[0:1], v[2:3]
	s_or_b32 s1, vcc_lo, s1
	s_delay_alu instid0(SALU_CYCLE_1) | instskip(NEXT) | instid1(SALU_CYCLE_1)
	s_and_b32 s1, exec_lo, s1
	s_or_b32 s6, s1, s6
	s_delay_alu instid0(SALU_CYCLE_1)
	s_and_not1_b32 exec_lo, exec_lo, s6
	s_cbranch_execz .LBB6_59
.LBB6_49:                               ; =>This Inner Loop Header: Depth=1
	s_delay_alu instid0(VALU_DEP_1) | instskip(SKIP_1) | instid1(VALU_DEP_1)
	v_lshlrev_b64_e32 v[6:7], 3, v[0:1]
	s_and_not1_b32 vcc_lo, exec_lo, s4
	v_add_nc_u64_e32 v[0:1], s[10:11], v[6:7]
	v_add_nc_u64_e32 v[6:7], s[12:13], v[6:7]
	global_load_b64 v[10:11], v[0:1], off
	global_load_b64 v[8:9], v[6:7], off
	s_wait_loadcnt 0x1
	v_cvt_f32_f16_e32 v14, v10
	s_cbranch_vccnz .LBB6_57
; %bb.50:                               ;   in Loop: Header=BB6_49 Depth=1
	global_load_b32 v13, v3, s[8:9]
	s_wait_loadcnt 0x0
	v_div_scale_f32 v15, null, v13, v13, v14
	s_delay_alu instid0(VALU_DEP_1) | instskip(SKIP_1) | instid1(TRANS32_DEP_1)
	v_rcp_f32_e32 v16, v15
	v_nop
	v_fma_f32 v17, -v15, v16, 1.0
	s_delay_alu instid0(VALU_DEP_1) | instskip(SKIP_1) | instid1(VALU_DEP_1)
	v_fmac_f32_e32 v16, v17, v16
	v_div_scale_f32 v17, vcc_lo, v14, v13, v14
	v_mul_f32_e32 v18, v17, v16
	s_delay_alu instid0(VALU_DEP_1) | instskip(NEXT) | instid1(VALU_DEP_1)
	v_fma_f32 v19, -v15, v18, v17
	v_fmac_f32_e32 v18, v19, v16
	s_delay_alu instid0(VALU_DEP_1) | instskip(NEXT) | instid1(VALU_DEP_1)
	v_fma_f32 v15, -v15, v18, v17
	v_div_fmas_f32 v15, v15, v16, v18
	s_delay_alu instid0(VALU_DEP_1) | instskip(NEXT) | instid1(VALU_DEP_1)
	v_div_fixup_f32 v14, v15, v13, v14
	v_cvt_f16_f32_e32 v13, v14
	v_lshrrev_b32_e32 v10, 16, v10
	s_and_not1_b32 vcc_lo, exec_lo, s4
	s_delay_alu instid0(VALU_DEP_1)
	v_cvt_f32_f16_e32 v15, v10
	s_cbranch_vccnz .LBB6_52
.LBB6_51:                               ;   in Loop: Header=BB6_49 Depth=1
	global_load_b32 v10, v3, s[8:9]
	s_wait_loadcnt 0x0
	v_div_scale_f32 v16, null, v10, v10, v15
	s_delay_alu instid0(VALU_DEP_1) | instskip(SKIP_1) | instid1(TRANS32_DEP_1)
	v_rcp_f32_e32 v17, v16
	v_nop
	v_fma_f32 v18, -v16, v17, 1.0
	s_delay_alu instid0(VALU_DEP_1) | instskip(SKIP_1) | instid1(VALU_DEP_1)
	v_fmac_f32_e32 v17, v18, v17
	v_div_scale_f32 v18, vcc_lo, v15, v10, v15
	v_mul_f32_e32 v19, v18, v17
	s_delay_alu instid0(VALU_DEP_1) | instskip(NEXT) | instid1(VALU_DEP_1)
	v_fma_f32 v20, -v16, v19, v18
	v_fmac_f32_e32 v19, v20, v17
	s_delay_alu instid0(VALU_DEP_1) | instskip(NEXT) | instid1(VALU_DEP_1)
	v_fma_f32 v16, -v16, v19, v18
	v_div_fmas_f32 v16, v16, v17, v19
	s_delay_alu instid0(VALU_DEP_1) | instskip(NEXT) | instid1(VALU_DEP_1)
	v_div_fixup_f32 v15, v16, v10, v15
	v_cvt_f16_f32_e32 v10, v15
.LBB6_52:                               ;   in Loop: Header=BB6_49 Depth=1
	v_cvt_f32_f16_e32 v17, v11
	s_and_not1_b32 vcc_lo, exec_lo, s4
	s_cbranch_vccnz .LBB6_58
; %bb.53:                               ;   in Loop: Header=BB6_49 Depth=1
	global_load_b32 v16, v3, s[8:9]
	s_wait_loadcnt 0x0
	v_div_scale_f32 v18, null, v16, v16, v17
	s_delay_alu instid0(VALU_DEP_1) | instskip(SKIP_1) | instid1(TRANS32_DEP_1)
	v_rcp_f32_e32 v19, v18
	v_nop
	v_fma_f32 v20, -v18, v19, 1.0
	s_delay_alu instid0(VALU_DEP_1) | instskip(SKIP_1) | instid1(VALU_DEP_1)
	v_fmac_f32_e32 v19, v20, v19
	v_div_scale_f32 v20, vcc_lo, v17, v16, v17
	v_mul_f32_e32 v21, v20, v19
	s_delay_alu instid0(VALU_DEP_1) | instskip(NEXT) | instid1(VALU_DEP_1)
	v_fma_f32 v22, -v18, v21, v20
	v_fmac_f32_e32 v21, v22, v19
	s_delay_alu instid0(VALU_DEP_1) | instskip(NEXT) | instid1(VALU_DEP_1)
	v_fma_f32 v18, -v18, v21, v20
	v_div_fmas_f32 v18, v18, v19, v21
	s_delay_alu instid0(VALU_DEP_1) | instskip(NEXT) | instid1(VALU_DEP_1)
	v_div_fixup_f32 v17, v18, v16, v17
	v_cvt_f16_f32_e32 v16, v17
	v_lshrrev_b32_e32 v11, 16, v11
	s_and_not1_b32 vcc_lo, exec_lo, s4
	s_delay_alu instid0(VALU_DEP_1)
	v_cvt_f32_f16_e32 v18, v11
	s_cbranch_vccnz .LBB6_55
.LBB6_54:                               ;   in Loop: Header=BB6_49 Depth=1
	global_load_b32 v11, v3, s[8:9]
	s_wait_loadcnt 0x0
	v_div_scale_f32 v19, null, v11, v11, v18
	s_delay_alu instid0(VALU_DEP_1) | instskip(SKIP_1) | instid1(TRANS32_DEP_1)
	v_rcp_f32_e32 v20, v19
	v_nop
	v_fma_f32 v21, -v19, v20, 1.0
	s_delay_alu instid0(VALU_DEP_1) | instskip(SKIP_1) | instid1(VALU_DEP_1)
	v_fmac_f32_e32 v20, v21, v20
	v_div_scale_f32 v21, vcc_lo, v18, v11, v18
	v_mul_f32_e32 v22, v21, v20
	s_delay_alu instid0(VALU_DEP_1) | instskip(NEXT) | instid1(VALU_DEP_1)
	v_fma_f32 v23, -v19, v22, v21
	v_fmac_f32_e32 v22, v23, v20
	s_delay_alu instid0(VALU_DEP_1) | instskip(NEXT) | instid1(VALU_DEP_1)
	v_fma_f32 v19, -v19, v22, v21
	v_div_fmas_f32 v19, v19, v20, v22
	s_delay_alu instid0(VALU_DEP_1) | instskip(NEXT) | instid1(VALU_DEP_1)
	v_div_fixup_f32 v18, v19, v11, v18
	v_cvt_f16_f32_e32 v11, v18
.LBB6_55:                               ;   in Loop: Header=BB6_49 Depth=1
	v_dual_cndmask_b32 v17, v17, -v17, s7 :: v_dual_cndmask_b32 v14, v14, -v14, s7
	s_delay_alu instid0(VALU_DEP_2) | instskip(SKIP_2) | instid1(VALU_DEP_2)
	v_dual_cndmask_b32 v15, v15, -v15, s7 :: v_dual_cndmask_b32 v18, v18, -v18, s7
	s_and_not1_b32 vcc_lo, exec_lo, s4
	s_wait_loadcnt 0x0
	v_fma_mix_f32 v19, v27, v9, v17 op_sel_hi:[0,1,0]
	v_fma_mix_f32 v20, v27, v8, v14 op_sel_hi:[0,1,0]
	v_fma_mix_f32 v21, v27, v8, v15 op_sel:[0,1,0] op_sel_hi:[0,1,0]
	v_fma_mix_f32 v22, v27, v9, v18 op_sel:[0,1,0] op_sel_hi:[0,1,0]
	s_delay_alu instid0(VALU_DEP_3) | instskip(NEXT) | instid1(VALU_DEP_2)
	v_dual_cndmask_b32 v17, v17, v19, s0 :: v_dual_cndmask_b32 v14, v14, v20, s0
	v_dual_cndmask_b32 v19, v15, v21, s0 :: v_dual_cndmask_b32 v18, v18, v22, s0
	s_delay_alu instid0(VALU_DEP_2) | instskip(NEXT) | instid1(VALU_DEP_3)
	v_fma_mixlo_f16 v15, -v26, v17, v9 op_sel_hi:[0,0,1]
	v_fma_mixlo_f16 v14, -v26, v14, v8 op_sel_hi:[0,0,1]
	s_delay_alu instid0(VALU_DEP_2) | instskip(NEXT) | instid1(VALU_DEP_2)
	v_fma_mixhi_f16 v15, -v26, v18, v9 op_sel:[0,0,1] op_sel_hi:[0,0,1]
	v_fma_mixhi_f16 v14, -v26, v19, v8 op_sel:[0,0,1] op_sel_hi:[0,0,1]
	global_store_b64 v[6:7], v[14:15], off
	s_cbranch_vccnz .LBB6_48
; %bb.56:                               ;   in Loop: Header=BB6_49 Depth=1
	s_wait_xcnt 0x0
	v_perm_b32 v7, v11, v16, 0x5040100
	v_perm_b32 v6, v10, v13, 0x5040100
	global_store_b64 v[0:1], v[6:7], off
	s_branch .LBB6_48
.LBB6_57:                               ;   in Loop: Header=BB6_49 Depth=1
	v_dual_mov_b32 v13, v10 :: v_dual_lshrrev_b32 v10, 16, v10
	s_and_not1_b32 vcc_lo, exec_lo, s4
	s_delay_alu instid0(VALU_DEP_1)
	v_cvt_f32_f16_e32 v15, v10
	s_cbranch_vccz .LBB6_51
	s_branch .LBB6_52
.LBB6_58:                               ;   in Loop: Header=BB6_49 Depth=1
	v_dual_mov_b32 v16, v11 :: v_dual_lshrrev_b32 v11, 16, v11
	s_and_not1_b32 vcc_lo, exec_lo, s4
	s_delay_alu instid0(VALU_DEP_1)
	v_cvt_f32_f16_e32 v18, v11
	s_cbranch_vccz .LBB6_54
	s_branch .LBB6_55
.LBB6_59:
	s_endpgm
.LBB6_60:
                                        ; implicit-def: $sgpr2
	s_load_b32 s14, s[10:11], 0x740
	v_mov_b32_e32 v26, s2
	s_branch .LBB6_5
	.section	.rodata,"a",@progbits
	.p2align	6, 0x0
	.amdhsa_kernel _ZN2at6native12_GLOBAL__N_125multi_tensor_apply_kernelINS1_18TensorListMetadataILi2EEENS1_19FusedSgdMathFunctorIN3c104HalfELi2EEEJddPfddbbbS9_S9_EEEvT_T0_DpT1_
		.amdhsa_group_segment_fixed_size 0
		.amdhsa_private_segment_fixed_size 0
		.amdhsa_kernarg_size 3472
		.amdhsa_user_sgpr_count 2
		.amdhsa_user_sgpr_dispatch_ptr 0
		.amdhsa_user_sgpr_queue_ptr 0
		.amdhsa_user_sgpr_kernarg_segment_ptr 1
		.amdhsa_user_sgpr_dispatch_id 0
		.amdhsa_user_sgpr_kernarg_preload_length 0
		.amdhsa_user_sgpr_kernarg_preload_offset 0
		.amdhsa_user_sgpr_private_segment_size 0
		.amdhsa_wavefront_size32 1
		.amdhsa_uses_dynamic_stack 0
		.amdhsa_enable_private_segment 0
		.amdhsa_system_sgpr_workgroup_id_x 1
		.amdhsa_system_sgpr_workgroup_id_y 0
		.amdhsa_system_sgpr_workgroup_id_z 0
		.amdhsa_system_sgpr_workgroup_info 0
		.amdhsa_system_vgpr_workitem_id 0
		.amdhsa_next_free_vgpr 44
		.amdhsa_next_free_sgpr 28
		.amdhsa_named_barrier_count 0
		.amdhsa_reserve_vcc 1
		.amdhsa_float_round_mode_32 0
		.amdhsa_float_round_mode_16_64 0
		.amdhsa_float_denorm_mode_32 3
		.amdhsa_float_denorm_mode_16_64 3
		.amdhsa_fp16_overflow 0
		.amdhsa_memory_ordered 1
		.amdhsa_forward_progress 1
		.amdhsa_inst_pref_size 24
		.amdhsa_round_robin_scheduling 0
		.amdhsa_exception_fp_ieee_invalid_op 0
		.amdhsa_exception_fp_denorm_src 0
		.amdhsa_exception_fp_ieee_div_zero 0
		.amdhsa_exception_fp_ieee_overflow 0
		.amdhsa_exception_fp_ieee_underflow 0
		.amdhsa_exception_fp_ieee_inexact 0
		.amdhsa_exception_int_div_zero 0
	.end_amdhsa_kernel
	.section	.text._ZN2at6native12_GLOBAL__N_125multi_tensor_apply_kernelINS1_18TensorListMetadataILi2EEENS1_19FusedSgdMathFunctorIN3c104HalfELi2EEEJddPfddbbbS9_S9_EEEvT_T0_DpT1_,"axG",@progbits,_ZN2at6native12_GLOBAL__N_125multi_tensor_apply_kernelINS1_18TensorListMetadataILi2EEENS1_19FusedSgdMathFunctorIN3c104HalfELi2EEEJddPfddbbbS9_S9_EEEvT_T0_DpT1_,comdat
.Lfunc_end6:
	.size	_ZN2at6native12_GLOBAL__N_125multi_tensor_apply_kernelINS1_18TensorListMetadataILi2EEENS1_19FusedSgdMathFunctorIN3c104HalfELi2EEEJddPfddbbbS9_S9_EEEvT_T0_DpT1_, .Lfunc_end6-_ZN2at6native12_GLOBAL__N_125multi_tensor_apply_kernelINS1_18TensorListMetadataILi2EEENS1_19FusedSgdMathFunctorIN3c104HalfELi2EEEJddPfddbbbS9_S9_EEEvT_T0_DpT1_
                                        ; -- End function
	.set _ZN2at6native12_GLOBAL__N_125multi_tensor_apply_kernelINS1_18TensorListMetadataILi2EEENS1_19FusedSgdMathFunctorIN3c104HalfELi2EEEJddPfddbbbS9_S9_EEEvT_T0_DpT1_.num_vgpr, 44
	.set _ZN2at6native12_GLOBAL__N_125multi_tensor_apply_kernelINS1_18TensorListMetadataILi2EEENS1_19FusedSgdMathFunctorIN3c104HalfELi2EEEJddPfddbbbS9_S9_EEEvT_T0_DpT1_.num_agpr, 0
	.set _ZN2at6native12_GLOBAL__N_125multi_tensor_apply_kernelINS1_18TensorListMetadataILi2EEENS1_19FusedSgdMathFunctorIN3c104HalfELi2EEEJddPfddbbbS9_S9_EEEvT_T0_DpT1_.numbered_sgpr, 28
	.set _ZN2at6native12_GLOBAL__N_125multi_tensor_apply_kernelINS1_18TensorListMetadataILi2EEENS1_19FusedSgdMathFunctorIN3c104HalfELi2EEEJddPfddbbbS9_S9_EEEvT_T0_DpT1_.num_named_barrier, 0
	.set _ZN2at6native12_GLOBAL__N_125multi_tensor_apply_kernelINS1_18TensorListMetadataILi2EEENS1_19FusedSgdMathFunctorIN3c104HalfELi2EEEJddPfddbbbS9_S9_EEEvT_T0_DpT1_.private_seg_size, 0
	.set _ZN2at6native12_GLOBAL__N_125multi_tensor_apply_kernelINS1_18TensorListMetadataILi2EEENS1_19FusedSgdMathFunctorIN3c104HalfELi2EEEJddPfddbbbS9_S9_EEEvT_T0_DpT1_.uses_vcc, 1
	.set _ZN2at6native12_GLOBAL__N_125multi_tensor_apply_kernelINS1_18TensorListMetadataILi2EEENS1_19FusedSgdMathFunctorIN3c104HalfELi2EEEJddPfddbbbS9_S9_EEEvT_T0_DpT1_.uses_flat_scratch, 0
	.set _ZN2at6native12_GLOBAL__N_125multi_tensor_apply_kernelINS1_18TensorListMetadataILi2EEENS1_19FusedSgdMathFunctorIN3c104HalfELi2EEEJddPfddbbbS9_S9_EEEvT_T0_DpT1_.has_dyn_sized_stack, 0
	.set _ZN2at6native12_GLOBAL__N_125multi_tensor_apply_kernelINS1_18TensorListMetadataILi2EEENS1_19FusedSgdMathFunctorIN3c104HalfELi2EEEJddPfddbbbS9_S9_EEEvT_T0_DpT1_.has_recursion, 0
	.set _ZN2at6native12_GLOBAL__N_125multi_tensor_apply_kernelINS1_18TensorListMetadataILi2EEENS1_19FusedSgdMathFunctorIN3c104HalfELi2EEEJddPfddbbbS9_S9_EEEvT_T0_DpT1_.has_indirect_call, 0
	.section	.AMDGPU.csdata,"",@progbits
; Kernel info:
; codeLenInByte = 2968
; TotalNumSgprs: 30
; NumVgprs: 44
; ScratchSize: 0
; MemoryBound: 0
; FloatMode: 240
; IeeeMode: 1
; LDSByteSize: 0 bytes/workgroup (compile time only)
; SGPRBlocks: 0
; VGPRBlocks: 2
; NumSGPRsForWavesPerEU: 30
; NumVGPRsForWavesPerEU: 44
; NamedBarCnt: 0
; Occupancy: 16
; WaveLimiterHint : 0
; COMPUTE_PGM_RSRC2:SCRATCH_EN: 0
; COMPUTE_PGM_RSRC2:USER_SGPR: 2
; COMPUTE_PGM_RSRC2:TRAP_HANDLER: 0
; COMPUTE_PGM_RSRC2:TGID_X_EN: 1
; COMPUTE_PGM_RSRC2:TGID_Y_EN: 0
; COMPUTE_PGM_RSRC2:TGID_Z_EN: 0
; COMPUTE_PGM_RSRC2:TIDIG_COMP_CNT: 0
	.section	.text._ZN2at6native12_GLOBAL__N_125multi_tensor_apply_kernelINS1_18TensorListMetadataILi2EEENS1_19FusedSgdMathFunctorIN3c108BFloat16ELi2EEEJddPfddbbbS9_S9_EEEvT_T0_DpT1_,"axG",@progbits,_ZN2at6native12_GLOBAL__N_125multi_tensor_apply_kernelINS1_18TensorListMetadataILi2EEENS1_19FusedSgdMathFunctorIN3c108BFloat16ELi2EEEJddPfddbbbS9_S9_EEEvT_T0_DpT1_,comdat
	.globl	_ZN2at6native12_GLOBAL__N_125multi_tensor_apply_kernelINS1_18TensorListMetadataILi2EEENS1_19FusedSgdMathFunctorIN3c108BFloat16ELi2EEEJddPfddbbbS9_S9_EEEvT_T0_DpT1_ ; -- Begin function _ZN2at6native12_GLOBAL__N_125multi_tensor_apply_kernelINS1_18TensorListMetadataILi2EEENS1_19FusedSgdMathFunctorIN3c108BFloat16ELi2EEEJddPfddbbbS9_S9_EEEvT_T0_DpT1_
	.p2align	8
	.type	_ZN2at6native12_GLOBAL__N_125multi_tensor_apply_kernelINS1_18TensorListMetadataILi2EEENS1_19FusedSgdMathFunctorIN3c108BFloat16ELi2EEEJddPfddbbbS9_S9_EEEvT_T0_DpT1_,@function
_ZN2at6native12_GLOBAL__N_125multi_tensor_apply_kernelINS1_18TensorListMetadataILi2EEENS1_19FusedSgdMathFunctorIN3c108BFloat16ELi2EEEJddPfddbbbS9_S9_EEEvT_T0_DpT1_: ; @_ZN2at6native12_GLOBAL__N_125multi_tensor_apply_kernelINS1_18TensorListMetadataILi2EEENS1_19FusedSgdMathFunctorIN3c108BFloat16ELi2EEEJddPfddbbbS9_S9_EEEvT_T0_DpT1_
; %bb.0:
	s_load_b128 s[8:11], s[0:1], 0xc80
	s_wait_kmcnt 0x0
	s_cmp_eq_u64 s[10:11], 0
	s_cselect_b32 s2, -1, 0
	s_delay_alu instid0(SALU_CYCLE_1)
	s_and_b32 vcc_lo, exec_lo, s2
	s_cbranch_vccnz .LBB7_2
; %bb.1:
	s_load_b32 s2, s[10:11], 0x0
	s_wait_kmcnt 0x0
	s_cmp_neq_f32 s2, 1.0
	s_cselect_b32 s2, -1, 0
.LBB7_2:
	s_delay_alu instid0(SALU_CYCLE_1)
	s_and_not1_b32 vcc_lo, exec_lo, s2
	s_cbranch_vccnz .LBB7_59
; %bb.3:
	s_bfe_u32 s2, ttmp6, 0x4000c
	s_and_b32 s3, ttmp6, 15
	s_add_co_i32 s2, s2, 1
	s_getreg_b32 s4, hwreg(HW_REG_IB_STS2, 6, 4)
	s_mul_i32 s2, ttmp9, s2
	s_delay_alu instid0(SALU_CYCLE_1)
	s_add_co_i32 s3, s3, s2
	s_cmp_eq_u32 s4, 0
	s_load_b128 s[4:7], s[0:1], 0xc60
	s_cselect_b32 s2, ttmp9, s3
	s_mov_b32 s3, 0
	v_mov_b32_e32 v1, s2
	s_add_nc_u64 s[10:11], s[0:1], s[2:3]
	s_mul_u64 s[14:15], s[2:3], 3
	s_delay_alu instid0(SALU_CYCLE_1)
	s_add_nc_u64 s[10:11], s[10:11], s[14:15]
	global_load_u8 v1, v1, s[0:1] offset:1536
	s_wait_kmcnt 0x0
	s_cmp_eq_u64 s[4:5], 0
	s_wait_loadcnt 0x0
	v_readfirstlane_b32 s12, v1
	s_cbranch_scc1 .LBB7_60
; %bb.4:
	s_load_b32 s4, s[4:5], 0x0
	s_nop 0
	s_load_b32 s2, s[10:11], 0x740
	s_wait_kmcnt 0x0
	v_mov_b32_e32 v14, s4
	s_and_not1_b32 vcc_lo, exec_lo, s3
	s_cbranch_vccnz .LBB7_6
.LBB7_5:
	v_cvt_f32_f64_e32 v14, s[6:7]
.LBB7_6:
	s_clause 0x1
	s_load_b32 s3, s[0:1], 0xc78
	s_load_b64 s[4:5], s[0:1], 0xc50
	s_wait_kmcnt 0x0
	s_bitcmp1_b32 s3, 8
	v_cvt_f32_f64_e32 v15, s[4:5]
	s_cselect_b32 s24, -1, 0
	s_and_b32 s3, s12, 0xff
	s_clause 0x2
	s_load_b64 s[6:7], s[0:1], s3 offset:0x400 scale_offset
	s_load_b64 s[12:13], s[0:1], s3 offset:0x0 scale_offset
	;; [unrolled: 1-line block ×3, first 2 shown]
	s_wait_xcnt 0x0
	s_ashr_i32 s3, s2, 31
	s_delay_alu instid0(SALU_CYCLE_1)
	s_lshl_b64 s[4:5], s[2:3], 17
	s_lshl_b64 s[2:3], s[2:3], 16
	s_wait_kmcnt 0x0
	s_and_b64 s[14:15], s[6:7], 3
	s_add_nc_u64 s[12:13], s[12:13], s[4:5]
	s_add_nc_u64 s[10:11], s[10:11], s[4:5]
	s_mov_b32 s5, 0
	s_and_b32 s4, s10, 7
	s_and_b64 s[16:17], s[12:13], 7
	s_or_b64 s[4:5], s[14:15], s[4:5]
	s_sub_nc_u64 s[14:15], s[6:7], s[2:3]
	s_or_b64 s[4:5], s[4:5], s[16:17]
	s_mov_b32 s2, -1
	s_cmp_eq_u64 s[4:5], 0
	s_cbranch_scc1 .LBB7_45
; %bb.7:
	v_cmp_lt_i64_e64 s2, s[14:15], 1
	s_and_b32 vcc_lo, exec_lo, s2
	s_cbranch_vccnz .LBB7_44
; %bb.8:
	v_min_i64 v[2:3], 0x10000, s[14:15]
	v_min_u64 v[4:5], 0x10000, s[14:15]
	s_load_b32 s2, s[0:1], 0xc9c
	v_mov_b32_e32 v7, 0
	s_mov_b32 s7, 0
	s_mov_b64 s[22:23], 0
	s_mov_b32 s17, s7
	s_mov_b32 s19, s7
	;; [unrolled: 1-line block ×3, first 2 shown]
	s_wait_kmcnt 0x0
	s_and_b32 s16, s2, 0xffff
	v_cmp_neq_f32_e64 s2, 0, v15
	s_lshl_b32 s18, s16, 1
	s_cmp_lg_u64 s[8:9], 0
	s_mul_i32 s20, s16, 3
	s_cselect_b32 s25, -1, 0
	s_lshl_b32 s26, s16, 2
	s_branch .LBB7_11
.LBB7_9:                                ;   in Loop: Header=BB7_11 Depth=1
	s_wait_xcnt 0x0
	s_or_b32 exec_lo, exec_lo, s3
.LBB7_10:                               ;   in Loop: Header=BB7_11 Depth=1
	s_add_co_i32 s6, s26, s22
	s_delay_alu instid0(SALU_CYCLE_1)
	v_cmp_lt_i64_e32 vcc_lo, s[6:7], v[2:3]
	s_mov_b64 s[22:23], s[6:7]
	s_cbranch_vccz .LBB7_44
.LBB7_11:                               ; =>This Inner Loop Header: Depth=1
	v_dual_mov_b32 v1, v7 :: v_dual_add_nc_u32 v6, s22, v0
	v_mov_b32_e32 v19, v7
	s_delay_alu instid0(VALU_DEP_2)
	v_cmp_lt_u64_e64 s3, v[6:7], v[4:5]
	s_and_saveexec_b32 s4, s3
	s_cbranch_execz .LBB7_13
; %bb.12:                               ;   in Loop: Header=BB7_11 Depth=1
	v_lshlrev_b64_e32 v[8:9], 1, v[6:7]
	s_delay_alu instid0(VALU_DEP_1)
	v_add_nc_u64_e32 v[10:11], s[12:13], v[8:9]
	v_add_nc_u64_e32 v[8:9], s[10:11], v[8:9]
	global_load_u16 v12, v[10:11], off
	global_load_u16 v1, v[8:9], off
	s_wait_loadcnt 0x1
	v_lshlrev_b32_e32 v19, 16, v12
.LBB7_13:                               ;   in Loop: Header=BB7_11 Depth=1
	s_wait_xcnt 0x0
	s_or_b32 exec_lo, exec_lo, s4
	v_add_nc_u64_e32 v[8:9], s[16:17], v[6:7]
	v_dual_mov_b32 v20, 0 :: v_dual_mov_b32 v16, 0
	v_mov_b32_e32 v17, 0
	s_delay_alu instid0(VALU_DEP_3)
	v_cmp_lt_u64_e64 s4, v[8:9], v[4:5]
	s_and_saveexec_b32 s5, s4
	s_cbranch_execz .LBB7_15
; %bb.14:                               ;   in Loop: Header=BB7_11 Depth=1
	v_lshlrev_b64_e32 v[10:11], 1, v[8:9]
	s_delay_alu instid0(VALU_DEP_1)
	v_add_nc_u64_e32 v[12:13], s[12:13], v[10:11]
	v_add_nc_u64_e32 v[10:11], s[10:11], v[10:11]
	global_load_u16 v18, v[12:13], off
	global_load_u16 v17, v[10:11], off
	s_wait_loadcnt 0x1
	v_lshlrev_b32_e32 v20, 16, v18
.LBB7_15:                               ;   in Loop: Header=BB7_11 Depth=1
	s_wait_xcnt 0x0
	s_or_b32 exec_lo, exec_lo, s5
	v_add_nc_u64_e32 v[10:11], s[18:19], v[6:7]
	v_mov_b32_e32 v21, 0
	s_delay_alu instid0(VALU_DEP_2)
	v_cmp_lt_u64_e64 s5, v[10:11], v[4:5]
	s_and_saveexec_b32 s6, s5
	s_cbranch_execz .LBB7_17
; %bb.16:                               ;   in Loop: Header=BB7_11 Depth=1
	v_lshlrev_b64_e32 v[12:13], 1, v[10:11]
	s_delay_alu instid0(VALU_DEP_1)
	v_add_nc_u64_e32 v[22:23], s[12:13], v[12:13]
	v_add_nc_u64_e32 v[12:13], s[10:11], v[12:13]
	global_load_u16 v18, v[22:23], off
	global_load_u16 v16, v[12:13], off
	s_wait_loadcnt 0x1
	v_lshlrev_b32_e32 v21, 16, v18
.LBB7_17:                               ;   in Loop: Header=BB7_11 Depth=1
	s_wait_xcnt 0x0
	s_or_b32 exec_lo, exec_lo, s6
	v_add_nc_u64_e32 v[12:13], s[20:21], v[6:7]
	v_dual_mov_b32 v22, 0 :: v_dual_mov_b32 v18, 0
	s_delay_alu instid0(VALU_DEP_2)
	v_cmp_lt_u64_e64 s6, v[12:13], v[4:5]
	s_and_saveexec_b32 s23, s6
	s_cbranch_execz .LBB7_19
; %bb.18:                               ;   in Loop: Header=BB7_11 Depth=1
	v_lshlrev_b64_e32 v[22:23], 1, v[12:13]
	s_delay_alu instid0(VALU_DEP_1)
	v_add_nc_u64_e32 v[24:25], s[12:13], v[22:23]
	v_add_nc_u64_e32 v[22:23], s[10:11], v[22:23]
	global_load_u16 v26, v[24:25], off
	global_load_u16 v18, v[22:23], off
	s_wait_loadcnt 0x1
	s_wait_xcnt 0x0
	v_lshlrev_b32_e32 v22, 16, v26
.LBB7_19:                               ;   in Loop: Header=BB7_11 Depth=1
	s_or_b32 exec_lo, exec_lo, s23
	s_wait_loadcnt 0x0
	v_lshlrev_b32_e32 v23, 16, v1
	s_and_not1_b32 vcc_lo, exec_lo, s25
	s_cbranch_vccnz .LBB7_21
; %bb.20:                               ;   in Loop: Header=BB7_11 Depth=1
	s_load_b32 s23, s[8:9], 0x0
	s_wait_kmcnt 0x0
	v_div_scale_f32 v1, null, s23, s23, v23
	s_delay_alu instid0(VALU_DEP_1) | instskip(SKIP_1) | instid1(TRANS32_DEP_1)
	v_rcp_f32_e32 v24, v1
	v_nop
	v_fma_f32 v25, -v1, v24, 1.0
	s_delay_alu instid0(VALU_DEP_1) | instskip(SKIP_1) | instid1(VALU_DEP_1)
	v_fmac_f32_e32 v24, v25, v24
	v_div_scale_f32 v25, vcc_lo, v23, s23, v23
	v_mul_f32_e32 v26, v25, v24
	s_delay_alu instid0(VALU_DEP_1) | instskip(NEXT) | instid1(VALU_DEP_1)
	v_fma_f32 v27, -v1, v26, v25
	v_fmac_f32_e32 v26, v27, v24
	s_delay_alu instid0(VALU_DEP_1) | instskip(NEXT) | instid1(VALU_DEP_1)
	v_fma_f32 v1, -v1, v26, v25
	v_div_fmas_f32 v1, v1, v24, v26
	s_delay_alu instid0(VALU_DEP_1) | instskip(NEXT) | instid1(VALU_DEP_1)
	v_div_fixup_f32 v23, v1, s23, v23
	v_bfe_u32 v1, v23, 16, 1
	v_cmp_o_f32_e32 vcc_lo, v23, v23
	s_delay_alu instid0(VALU_DEP_2) | instskip(NEXT) | instid1(VALU_DEP_1)
	v_add3_u32 v1, v23, v1, 0x7fff
	v_lshrrev_b32_e32 v1, 16, v1
	s_delay_alu instid0(VALU_DEP_1)
	v_cndmask_b32_e32 v1, 0x7fc0, v1, vcc_lo
.LBB7_21:                               ;   in Loop: Header=BB7_11 Depth=1
	v_lshlrev_b32_e32 v24, 16, v17
	s_and_not1_b32 vcc_lo, exec_lo, s25
	s_cbranch_vccnz .LBB7_23
; %bb.22:                               ;   in Loop: Header=BB7_11 Depth=1
	s_load_b32 s23, s[8:9], 0x0
	s_wait_kmcnt 0x0
	v_div_scale_f32 v17, null, s23, s23, v24
	s_delay_alu instid0(VALU_DEP_1) | instskip(SKIP_1) | instid1(TRANS32_DEP_1)
	v_rcp_f32_e32 v25, v17
	v_nop
	v_fma_f32 v26, -v17, v25, 1.0
	s_delay_alu instid0(VALU_DEP_1) | instskip(SKIP_1) | instid1(VALU_DEP_1)
	v_fmac_f32_e32 v25, v26, v25
	v_div_scale_f32 v26, vcc_lo, v24, s23, v24
	v_mul_f32_e32 v27, v26, v25
	s_delay_alu instid0(VALU_DEP_1) | instskip(NEXT) | instid1(VALU_DEP_1)
	v_fma_f32 v28, -v17, v27, v26
	v_fmac_f32_e32 v27, v28, v25
	s_delay_alu instid0(VALU_DEP_1) | instskip(NEXT) | instid1(VALU_DEP_1)
	v_fma_f32 v17, -v17, v27, v26
	v_div_fmas_f32 v17, v17, v25, v27
	s_delay_alu instid0(VALU_DEP_1) | instskip(NEXT) | instid1(VALU_DEP_1)
	v_div_fixup_f32 v24, v17, s23, v24
	v_bfe_u32 v17, v24, 16, 1
	v_cmp_o_f32_e32 vcc_lo, v24, v24
	s_delay_alu instid0(VALU_DEP_2) | instskip(NEXT) | instid1(VALU_DEP_1)
	v_add3_u32 v17, v24, v17, 0x7fff
	v_lshrrev_b32_e32 v17, 16, v17
	s_delay_alu instid0(VALU_DEP_1)
	v_cndmask_b32_e32 v17, 0x7fc0, v17, vcc_lo
.LBB7_23:                               ;   in Loop: Header=BB7_11 Depth=1
	;; [unrolled: 31-line block ×4, first 2 shown]
	s_and_saveexec_b32 s23, s3
	s_cbranch_execnz .LBB7_32
; %bb.28:                               ;   in Loop: Header=BB7_11 Depth=1
	s_or_b32 exec_lo, exec_lo, s23
	s_and_saveexec_b32 s23, s4
	s_cbranch_execnz .LBB7_33
.LBB7_29:                               ;   in Loop: Header=BB7_11 Depth=1
	s_or_b32 exec_lo, exec_lo, s23
	s_and_saveexec_b32 s23, s5
	s_cbranch_execnz .LBB7_34
.LBB7_30:                               ;   in Loop: Header=BB7_11 Depth=1
	s_or_b32 exec_lo, exec_lo, s23
	s_and_saveexec_b32 s23, s6
	s_cbranch_execnz .LBB7_35
.LBB7_31:                               ;   in Loop: Header=BB7_11 Depth=1
	s_or_b32 exec_lo, exec_lo, s23
	s_delay_alu instid0(SALU_CYCLE_1)
	s_and_not1_b32 vcc_lo, exec_lo, s25
	s_cbranch_vccz .LBB7_36
	s_branch .LBB7_10
.LBB7_32:                               ;   in Loop: Header=BB7_11 Depth=1
	v_cndmask_b32_e64 v23, v23, -v23, s24
	v_lshl_add_u64 v[28:29], v[6:7], 1, s[12:13]
	s_delay_alu instid0(VALU_DEP_2) | instskip(NEXT) | instid1(VALU_DEP_1)
	v_fma_f32 v27, v19, v15, v23
	v_cndmask_b32_e64 v23, v23, v27, s2
	s_delay_alu instid0(VALU_DEP_1) | instskip(NEXT) | instid1(VALU_DEP_1)
	v_fma_f32 v19, -v14, v23, v19
	v_bfe_u32 v23, v19, 16, 1
	s_delay_alu instid0(VALU_DEP_1) | instskip(NEXT) | instid1(VALU_DEP_1)
	v_add3_u32 v23, v19, v23, 0x7fff
	v_lshrrev_b32_e32 v23, 16, v23
	v_cmp_o_f32_e32 vcc_lo, v19, v19
	s_delay_alu instid0(VALU_DEP_2)
	v_cndmask_b32_e32 v19, 0x7fc0, v23, vcc_lo
	global_store_b16 v[28:29], v19, off
	s_wait_xcnt 0x0
	s_or_b32 exec_lo, exec_lo, s23
	s_and_saveexec_b32 s23, s4
	s_cbranch_execz .LBB7_29
.LBB7_33:                               ;   in Loop: Header=BB7_11 Depth=1
	v_cndmask_b32_e64 v19, v24, -v24, s24
	v_lshl_add_u64 v[28:29], v[8:9], 1, s[12:13]
	s_delay_alu instid0(VALU_DEP_2) | instskip(NEXT) | instid1(VALU_DEP_1)
	v_fma_f32 v23, v20, v15, v19
	v_cndmask_b32_e64 v19, v19, v23, s2
	s_delay_alu instid0(VALU_DEP_1) | instskip(NEXT) | instid1(VALU_DEP_1)
	v_fma_f32 v19, -v14, v19, v20
	v_bfe_u32 v20, v19, 16, 1
	v_cmp_o_f32_e32 vcc_lo, v19, v19
	s_delay_alu instid0(VALU_DEP_2) | instskip(NEXT) | instid1(VALU_DEP_1)
	v_add3_u32 v20, v19, v20, 0x7fff
	v_lshrrev_b32_e32 v20, 16, v20
	s_delay_alu instid0(VALU_DEP_1)
	v_cndmask_b32_e32 v19, 0x7fc0, v20, vcc_lo
	global_store_b16 v[28:29], v19, off
	s_wait_xcnt 0x0
	s_or_b32 exec_lo, exec_lo, s23
	s_and_saveexec_b32 s23, s5
	s_cbranch_execz .LBB7_30
.LBB7_34:                               ;   in Loop: Header=BB7_11 Depth=1
	v_cndmask_b32_e64 v19, v25, -v25, s24
	s_delay_alu instid0(VALU_DEP_1) | instskip(NEXT) | instid1(VALU_DEP_1)
	v_fma_f32 v20, v21, v15, v19
	v_cndmask_b32_e64 v19, v19, v20, s2
	s_delay_alu instid0(VALU_DEP_1) | instskip(NEXT) | instid1(VALU_DEP_1)
	v_fma_f32 v19, -v14, v19, v21
	v_bfe_u32 v20, v19, 16, 1
	v_cmp_o_f32_e32 vcc_lo, v19, v19
	s_delay_alu instid0(VALU_DEP_2) | instskip(NEXT) | instid1(VALU_DEP_1)
	v_add3_u32 v20, v19, v20, 0x7fff
	v_lshrrev_b32_e32 v20, 16, v20
	s_delay_alu instid0(VALU_DEP_1)
	v_cndmask_b32_e32 v19, 0x7fc0, v20, vcc_lo
	v_lshl_add_u64 v[20:21], v[10:11], 1, s[12:13]
	global_store_b16 v[20:21], v19, off
	s_wait_xcnt 0x0
	s_or_b32 exec_lo, exec_lo, s23
	s_and_saveexec_b32 s23, s6
	s_cbranch_execz .LBB7_31
.LBB7_35:                               ;   in Loop: Header=BB7_11 Depth=1
	v_cndmask_b32_e64 v19, v26, -v26, s24
	s_delay_alu instid0(VALU_DEP_1) | instskip(NEXT) | instid1(VALU_DEP_1)
	v_fma_f32 v20, v22, v15, v19
	v_cndmask_b32_e64 v19, v19, v20, s2
	s_delay_alu instid0(VALU_DEP_1) | instskip(NEXT) | instid1(VALU_DEP_1)
	v_fma_f32 v19, -v14, v19, v22
	v_bfe_u32 v20, v19, 16, 1
	v_cmp_o_f32_e32 vcc_lo, v19, v19
	s_delay_alu instid0(VALU_DEP_2) | instskip(NEXT) | instid1(VALU_DEP_1)
	v_add3_u32 v20, v19, v20, 0x7fff
	v_lshrrev_b32_e32 v20, 16, v20
	s_delay_alu instid0(VALU_DEP_1) | instskip(SKIP_4) | instid1(SALU_CYCLE_1)
	v_cndmask_b32_e32 v19, 0x7fc0, v20, vcc_lo
	v_lshl_add_u64 v[20:21], v[12:13], 1, s[12:13]
	global_store_b16 v[20:21], v19, off
	s_wait_xcnt 0x0
	s_or_b32 exec_lo, exec_lo, s23
	s_and_not1_b32 vcc_lo, exec_lo, s25
	s_cbranch_vccnz .LBB7_10
.LBB7_36:                               ;   in Loop: Header=BB7_11 Depth=1
	s_and_saveexec_b32 s23, s3
	s_cbranch_execnz .LBB7_40
; %bb.37:                               ;   in Loop: Header=BB7_11 Depth=1
	s_or_b32 exec_lo, exec_lo, s23
	s_and_saveexec_b32 s3, s4
	s_cbranch_execnz .LBB7_41
.LBB7_38:                               ;   in Loop: Header=BB7_11 Depth=1
	s_or_b32 exec_lo, exec_lo, s3
	s_and_saveexec_b32 s3, s5
	s_cbranch_execnz .LBB7_42
.LBB7_39:                               ;   in Loop: Header=BB7_11 Depth=1
	s_or_b32 exec_lo, exec_lo, s3
	s_and_saveexec_b32 s3, s6
	s_cbranch_execz .LBB7_9
	s_branch .LBB7_43
.LBB7_40:                               ;   in Loop: Header=BB7_11 Depth=1
	v_lshl_add_u64 v[20:21], v[6:7], 1, s[10:11]
	global_store_b16 v[20:21], v1, off
	s_wait_xcnt 0x0
	s_or_b32 exec_lo, exec_lo, s23
	s_and_saveexec_b32 s3, s4
	s_cbranch_execz .LBB7_38
.LBB7_41:                               ;   in Loop: Header=BB7_11 Depth=1
	v_lshl_add_u64 v[8:9], v[8:9], 1, s[10:11]
	global_store_b16 v[8:9], v17, off
	s_wait_xcnt 0x0
	s_or_b32 exec_lo, exec_lo, s3
	s_and_saveexec_b32 s3, s5
	s_cbranch_execz .LBB7_39
.LBB7_42:                               ;   in Loop: Header=BB7_11 Depth=1
	v_lshl_add_u64 v[8:9], v[10:11], 1, s[10:11]
	global_store_b16 v[8:9], v16, off
	s_wait_xcnt 0x0
	s_or_b32 exec_lo, exec_lo, s3
	s_and_saveexec_b32 s3, s6
	s_cbranch_execz .LBB7_9
.LBB7_43:                               ;   in Loop: Header=BB7_11 Depth=1
	v_lshl_add_u64 v[8:9], v[12:13], 1, s[10:11]
	global_store_b16 v[8:9], v18, off
	s_branch .LBB7_9
.LBB7_44:
	s_mov_b32 s2, 0
.LBB7_45:
	s_delay_alu instid0(SALU_CYCLE_1)
	s_and_not1_b32 vcc_lo, exec_lo, s2
	s_cbranch_vccnz .LBB7_59
; %bb.46:
	v_dual_mov_b32 v3, 0 :: v_dual_lshlrev_b32 v2, 2, v0
	s_mov_b32 s2, exec_lo
	s_delay_alu instid0(VALU_DEP_1)
	v_cmpx_gt_i64_e64 s[14:15], v[2:3]
	s_cbranch_execz .LBB7_59
; %bb.47:
	s_load_b32 s0, s[0:1], 0xc9c
	s_cmp_lg_u64 s[8:9], 0
	s_mov_b32 s3, 0
	s_cselect_b32 s4, -1, 0
	s_mov_b32 s6, s3
	s_wait_kmcnt 0x0
	s_and_b32 s5, s0, 0xffff
	s_delay_alu instid0(SALU_CYCLE_1)
	v_dual_mov_b32 v1, v3 :: v_dual_add_nc_u32 v12, s5, v0
	v_add_lshl_u32 v2, v0, s5, 2
	s_wait_xcnt 0x0
	v_cmp_neq_f32_e64 s0, 0, v15
	s_lshl_b32 s2, s5, 2
	v_mov_b64_e32 v[4:5], v[2:3]
	v_mov_b32_e32 v2, v0
	s_branch .LBB7_49
.LBB7_48:                               ;   in Loop: Header=BB7_49 Depth=1
	v_cmp_le_u64_e32 vcc_lo, s[14:15], v[4:5]
	v_add_nc_u32_e32 v2, s5, v2
	v_cmp_lt_u32_e64 s1, 0x3fff, v12
	v_add_nc_u32_e32 v12, s5, v12
	v_add_nc_u64_e32 v[4:5], s[2:3], v[4:5]
	s_wait_xcnt 0x0
	v_mov_b64_e32 v[0:1], v[2:3]
	s_or_b32 s1, vcc_lo, s1
	s_delay_alu instid0(SALU_CYCLE_1) | instskip(NEXT) | instid1(SALU_CYCLE_1)
	s_and_b32 s1, exec_lo, s1
	s_or_b32 s6, s1, s6
	s_delay_alu instid0(SALU_CYCLE_1)
	s_and_not1_b32 exec_lo, exec_lo, s6
	s_cbranch_execz .LBB7_59
.LBB7_49:                               ; =>This Inner Loop Header: Depth=1
	s_delay_alu instid0(VALU_DEP_1) | instskip(SKIP_1) | instid1(VALU_DEP_1)
	v_lshlrev_b64_e32 v[6:7], 3, v[0:1]
	s_and_not1_b32 vcc_lo, exec_lo, s4
	v_add_nc_u64_e32 v[0:1], s[10:11], v[6:7]
	v_add_nc_u64_e32 v[8:9], s[12:13], v[6:7]
	global_load_b64 v[6:7], v[0:1], off
	global_load_b64 v[10:11], v[8:9], off
	s_wait_loadcnt 0x1
	v_lshlrev_b32_e32 v13, 16, v6
	s_cbranch_vccnz .LBB7_51
; %bb.50:                               ;   in Loop: Header=BB7_49 Depth=1
	global_load_b32 v16, v3, s[8:9]
	v_and_b32_e32 v6, 0xffff0000, v6
	s_wait_loadcnt 0x0
	v_div_scale_f32 v17, null, v16, v16, v13
	v_div_scale_f32 v20, vcc_lo, v13, v16, v13
	s_delay_alu instid0(VALU_DEP_2) | instskip(SKIP_1) | instid1(TRANS32_DEP_1)
	v_rcp_f32_e32 v18, v17
	v_nop
	v_fma_f32 v19, -v17, v18, 1.0
	s_delay_alu instid0(VALU_DEP_1) | instskip(NEXT) | instid1(VALU_DEP_1)
	v_fmac_f32_e32 v18, v19, v18
	v_mul_f32_e32 v19, v20, v18
	s_delay_alu instid0(VALU_DEP_1) | instskip(NEXT) | instid1(VALU_DEP_1)
	v_fma_f32 v21, -v17, v19, v20
	v_fmac_f32_e32 v19, v21, v18
	s_delay_alu instid0(VALU_DEP_1) | instskip(NEXT) | instid1(VALU_DEP_1)
	v_fma_f32 v17, -v17, v19, v20
	v_div_fmas_f32 v17, v17, v18, v19
	s_delay_alu instid0(VALU_DEP_1) | instskip(NEXT) | instid1(VALU_DEP_1)
	v_div_fixup_f32 v13, v17, v16, v13
	v_bfe_u32 v16, v13, 16, 1
	v_cmp_o_f32_e32 vcc_lo, v13, v13
	s_delay_alu instid0(VALU_DEP_2) | instskip(NEXT) | instid1(VALU_DEP_1)
	v_add3_u32 v16, v13, v16, 0x7fff
	v_lshrrev_b32_e32 v16, 16, v16
	s_delay_alu instid0(VALU_DEP_1) | instskip(NEXT) | instid1(VALU_DEP_1)
	v_cndmask_b32_e32 v16, 0x7fc0, v16, vcc_lo
	v_or_b32_e32 v6, v16, v6
.LBB7_51:                               ;   in Loop: Header=BB7_49 Depth=1
	s_delay_alu instid0(VALU_DEP_1)
	v_and_b32_e32 v16, 0xffff0000, v6
	s_and_not1_b32 vcc_lo, exec_lo, s4
	s_cbranch_vccnz .LBB7_53
; %bb.52:                               ;   in Loop: Header=BB7_49 Depth=1
	global_load_b32 v17, v3, s[8:9]
	v_and_b32_e32 v6, 0xffff, v6
	s_wait_loadcnt 0x0
	v_div_scale_f32 v18, null, v17, v17, v16
	v_div_scale_f32 v21, vcc_lo, v16, v17, v16
	s_delay_alu instid0(VALU_DEP_2) | instskip(SKIP_1) | instid1(TRANS32_DEP_1)
	v_rcp_f32_e32 v19, v18
	v_nop
	v_fma_f32 v20, -v18, v19, 1.0
	s_delay_alu instid0(VALU_DEP_1) | instskip(NEXT) | instid1(VALU_DEP_1)
	v_fmac_f32_e32 v19, v20, v19
	v_mul_f32_e32 v20, v21, v19
	s_delay_alu instid0(VALU_DEP_1) | instskip(NEXT) | instid1(VALU_DEP_1)
	v_fma_f32 v22, -v18, v20, v21
	v_fmac_f32_e32 v20, v22, v19
	s_delay_alu instid0(VALU_DEP_1) | instskip(NEXT) | instid1(VALU_DEP_1)
	v_fma_f32 v18, -v18, v20, v21
	v_div_fmas_f32 v18, v18, v19, v20
	s_delay_alu instid0(VALU_DEP_1) | instskip(NEXT) | instid1(VALU_DEP_1)
	v_div_fixup_f32 v16, v18, v17, v16
	v_bfe_u32 v17, v16, 16, 1
	v_cmp_o_f32_e32 vcc_lo, v16, v16
	s_delay_alu instid0(VALU_DEP_2) | instskip(NEXT) | instid1(VALU_DEP_1)
	v_add3_u32 v17, v16, v17, 0x7fff
	v_and_b32_e32 v17, 0xffff0000, v17
	s_delay_alu instid0(VALU_DEP_1) | instskip(NEXT) | instid1(VALU_DEP_1)
	v_cndmask_b32_e32 v17, 0x7fc00000, v17, vcc_lo
	v_or_b32_e32 v6, v17, v6
.LBB7_53:                               ;   in Loop: Header=BB7_49 Depth=1
	s_delay_alu instid0(VALU_DEP_1) | instskip(SKIP_1) | instid1(VALU_DEP_1)
	v_alignbit_b32 v17, v7, v6, 16
	s_and_not1_b32 vcc_lo, exec_lo, s4
	v_and_b32_e32 v17, 0xffff0000, v17
	s_cbranch_vccnz .LBB7_55
; %bb.54:                               ;   in Loop: Header=BB7_49 Depth=1
	global_load_b32 v18, v3, s[8:9]
	v_and_b32_e32 v7, 0xffff0000, v7
	s_wait_loadcnt 0x0
	v_div_scale_f32 v19, null, v18, v18, v17
	v_div_scale_f32 v22, vcc_lo, v17, v18, v17
	s_delay_alu instid0(VALU_DEP_2) | instskip(SKIP_1) | instid1(TRANS32_DEP_1)
	v_rcp_f32_e32 v20, v19
	v_nop
	v_fma_f32 v21, -v19, v20, 1.0
	s_delay_alu instid0(VALU_DEP_1) | instskip(NEXT) | instid1(VALU_DEP_1)
	v_fmac_f32_e32 v20, v21, v20
	v_mul_f32_e32 v21, v22, v20
	s_delay_alu instid0(VALU_DEP_1) | instskip(NEXT) | instid1(VALU_DEP_1)
	v_fma_f32 v23, -v19, v21, v22
	v_fmac_f32_e32 v21, v23, v20
	s_delay_alu instid0(VALU_DEP_1) | instskip(NEXT) | instid1(VALU_DEP_1)
	v_fma_f32 v19, -v19, v21, v22
	v_div_fmas_f32 v19, v19, v20, v21
	s_delay_alu instid0(VALU_DEP_1) | instskip(NEXT) | instid1(VALU_DEP_1)
	v_div_fixup_f32 v17, v19, v18, v17
	v_bfe_u32 v18, v17, 16, 1
	v_cmp_o_f32_e32 vcc_lo, v17, v17
	s_delay_alu instid0(VALU_DEP_2) | instskip(NEXT) | instid1(VALU_DEP_1)
	v_add3_u32 v18, v17, v18, 0x7fff
	v_lshrrev_b32_e32 v18, 16, v18
	s_delay_alu instid0(VALU_DEP_1) | instskip(NEXT) | instid1(VALU_DEP_1)
	v_cndmask_b32_e32 v18, 0x7fc0, v18, vcc_lo
	v_or_b32_e32 v7, v18, v7
.LBB7_55:                               ;   in Loop: Header=BB7_49 Depth=1
	s_delay_alu instid0(VALU_DEP_1)
	v_and_b32_e32 v18, 0xffff0000, v7
	s_and_not1_b32 vcc_lo, exec_lo, s4
	s_cbranch_vccnz .LBB7_57
; %bb.56:                               ;   in Loop: Header=BB7_49 Depth=1
	global_load_b32 v19, v3, s[8:9]
	v_and_b32_e32 v7, 0xffff, v7
	s_wait_loadcnt 0x0
	v_div_scale_f32 v20, null, v19, v19, v18
	v_div_scale_f32 v23, vcc_lo, v18, v19, v18
	s_delay_alu instid0(VALU_DEP_2) | instskip(SKIP_1) | instid1(TRANS32_DEP_1)
	v_rcp_f32_e32 v21, v20
	v_nop
	v_fma_f32 v22, -v20, v21, 1.0
	s_delay_alu instid0(VALU_DEP_1) | instskip(NEXT) | instid1(VALU_DEP_1)
	v_fmac_f32_e32 v21, v22, v21
	v_mul_f32_e32 v22, v23, v21
	s_delay_alu instid0(VALU_DEP_1) | instskip(NEXT) | instid1(VALU_DEP_1)
	v_fma_f32 v24, -v20, v22, v23
	v_fmac_f32_e32 v22, v24, v21
	s_delay_alu instid0(VALU_DEP_1) | instskip(NEXT) | instid1(VALU_DEP_1)
	v_fma_f32 v20, -v20, v22, v23
	v_div_fmas_f32 v20, v20, v21, v22
	s_delay_alu instid0(VALU_DEP_1) | instskip(NEXT) | instid1(VALU_DEP_1)
	v_div_fixup_f32 v18, v20, v19, v18
	v_bfe_u32 v19, v18, 16, 1
	v_cmp_o_f32_e32 vcc_lo, v18, v18
	s_delay_alu instid0(VALU_DEP_2) | instskip(NEXT) | instid1(VALU_DEP_1)
	v_add3_u32 v19, v18, v19, 0x7fff
	v_and_b32_e32 v19, 0xffff0000, v19
	s_delay_alu instid0(VALU_DEP_1) | instskip(NEXT) | instid1(VALU_DEP_1)
	v_cndmask_b32_e32 v19, 0x7fc00000, v19, vcc_lo
	v_or_b32_e32 v7, v19, v7
.LBB7_57:                               ;   in Loop: Header=BB7_49 Depth=1
	v_dual_cndmask_b32 v13, v13, -v13, s24 :: v_dual_cndmask_b32 v16, v16, -v16, s24
	s_wait_loadcnt 0x0
	v_alignbit_b32 v19, v11, v10, 16
	v_dual_cndmask_b32 v17, v17, -v17, s24 :: v_dual_cndmask_b32 v18, v18, -v18, s24
	s_delay_alu instid0(VALU_DEP_3) | instskip(SKIP_1) | instid1(VALU_DEP_3)
	v_fma_mix_f32_bf16 v20, v15, v10, v13 op_sel_hi:[0,1,0]
	v_fma_mix_f32_bf16 v21, v15, v10, v16 op_sel:[0,1,0] op_sel_hi:[0,1,0]
	v_fma_mix_f32_bf16 v22, v15, v19, v17 op_sel:[0,1,0] op_sel_hi:[0,1,0]
	s_delay_alu instid0(VALU_DEP_4) | instskip(NEXT) | instid1(VALU_DEP_3)
	v_fma_mix_f32_bf16 v23, v15, v11, v18 op_sel:[0,1,0] op_sel_hi:[0,1,0]
	v_dual_cndmask_b32 v13, v13, v20, s0 :: v_dual_cndmask_b32 v16, v16, v21, s0
	s_delay_alu instid0(VALU_DEP_2) | instskip(NEXT) | instid1(VALU_DEP_2)
	v_dual_cndmask_b32 v17, v17, v22, s0 :: v_dual_cndmask_b32 v18, v18, v23, s0
	v_fma_mix_f32_bf16 v13, -v14, v13, v10 op_sel_hi:[0,0,1]
	s_delay_alu instid0(VALU_DEP_3) | instskip(NEXT) | instid1(VALU_DEP_3)
	v_fma_mix_f32_bf16 v10, -v14, v16, v10 op_sel:[0,0,1] op_sel_hi:[0,0,1]
	v_fma_mix_f32_bf16 v16, -v14, v17, v19 op_sel:[0,0,1] op_sel_hi:[0,0,1]
	s_delay_alu instid0(VALU_DEP_4) | instskip(NEXT) | instid1(VALU_DEP_4)
	v_fma_mix_f32_bf16 v11, -v14, v18, v11 op_sel:[0,0,1] op_sel_hi:[0,0,1]
	v_bfe_u32 v17, v13, 16, 1
	s_delay_alu instid0(VALU_DEP_4)
	v_bfe_u32 v18, v10, 16, 1
	v_cmp_o_f32_e32 vcc_lo, v13, v13
	v_bfe_u32 v19, v16, 16, 1
	v_bfe_u32 v20, v11, 16, 1
	v_add3_u32 v17, v13, v17, 0x7fff
	v_add3_u32 v18, v10, v18, 0x7fff
	s_delay_alu instid0(VALU_DEP_4) | instskip(NEXT) | instid1(VALU_DEP_4)
	v_add3_u32 v19, v16, v19, 0x7fff
	v_add3_u32 v20, v11, v20, 0x7fff
	s_delay_alu instid0(VALU_DEP_4) | instskip(NEXT) | instid1(VALU_DEP_4)
	v_lshrrev_b32_e32 v17, 16, v17
	v_and_b32_e32 v18, 0xffff0000, v18
	s_delay_alu instid0(VALU_DEP_4) | instskip(NEXT) | instid1(VALU_DEP_4)
	v_lshrrev_b32_e32 v19, 16, v19
	v_and_b32_e32 v20, 0xffff0000, v20
	s_delay_alu instid0(VALU_DEP_4) | instskip(SKIP_3) | instid1(VALU_DEP_2)
	v_cndmask_b32_e32 v13, 0x7fc0, v17, vcc_lo
	v_cmp_o_f32_e32 vcc_lo, v10, v10
	v_cndmask_b32_e32 v10, 0x7fc00000, v18, vcc_lo
	v_cmp_o_f32_e32 vcc_lo, v16, v16
	v_or_b32_e32 v10, v10, v13
	v_cndmask_b32_e32 v16, 0x7fc0, v19, vcc_lo
	v_cmp_o_f32_e32 vcc_lo, v11, v11
	s_delay_alu instid0(VALU_DEP_3) | instskip(SKIP_2) | instid1(VALU_DEP_1)
	v_or3_b32 v10, v10, 0, 0
	v_cndmask_b32_e32 v11, 0x7fc00000, v20, vcc_lo
	s_and_not1_b32 vcc_lo, exec_lo, s4
	v_or3_b32 v11, 0, v16, v11
	global_store_b64 v[8:9], v[10:11], off
	s_cbranch_vccnz .LBB7_48
; %bb.58:                               ;   in Loop: Header=BB7_49 Depth=1
	global_store_b64 v[0:1], v[6:7], off
	s_branch .LBB7_48
.LBB7_59:
	s_endpgm
.LBB7_60:
                                        ; implicit-def: $sgpr4
	s_load_b32 s2, s[10:11], 0x740
	v_mov_b32_e32 v14, s4
	s_branch .LBB7_5
	.section	.rodata,"a",@progbits
	.p2align	6, 0x0
	.amdhsa_kernel _ZN2at6native12_GLOBAL__N_125multi_tensor_apply_kernelINS1_18TensorListMetadataILi2EEENS1_19FusedSgdMathFunctorIN3c108BFloat16ELi2EEEJddPfddbbbS9_S9_EEEvT_T0_DpT1_
		.amdhsa_group_segment_fixed_size 0
		.amdhsa_private_segment_fixed_size 0
		.amdhsa_kernarg_size 3472
		.amdhsa_user_sgpr_count 2
		.amdhsa_user_sgpr_dispatch_ptr 0
		.amdhsa_user_sgpr_queue_ptr 0
		.amdhsa_user_sgpr_kernarg_segment_ptr 1
		.amdhsa_user_sgpr_dispatch_id 0
		.amdhsa_user_sgpr_kernarg_preload_length 0
		.amdhsa_user_sgpr_kernarg_preload_offset 0
		.amdhsa_user_sgpr_private_segment_size 0
		.amdhsa_wavefront_size32 1
		.amdhsa_uses_dynamic_stack 0
		.amdhsa_enable_private_segment 0
		.amdhsa_system_sgpr_workgroup_id_x 1
		.amdhsa_system_sgpr_workgroup_id_y 0
		.amdhsa_system_sgpr_workgroup_id_z 0
		.amdhsa_system_sgpr_workgroup_info 0
		.amdhsa_system_vgpr_workitem_id 0
		.amdhsa_next_free_vgpr 31
		.amdhsa_next_free_sgpr 27
		.amdhsa_named_barrier_count 0
		.amdhsa_reserve_vcc 1
		.amdhsa_float_round_mode_32 0
		.amdhsa_float_round_mode_16_64 0
		.amdhsa_float_denorm_mode_32 3
		.amdhsa_float_denorm_mode_16_64 3
		.amdhsa_fp16_overflow 0
		.amdhsa_memory_ordered 1
		.amdhsa_forward_progress 1
		.amdhsa_inst_pref_size 29
		.amdhsa_round_robin_scheduling 0
		.amdhsa_exception_fp_ieee_invalid_op 0
		.amdhsa_exception_fp_denorm_src 0
		.amdhsa_exception_fp_ieee_div_zero 0
		.amdhsa_exception_fp_ieee_overflow 0
		.amdhsa_exception_fp_ieee_underflow 0
		.amdhsa_exception_fp_ieee_inexact 0
		.amdhsa_exception_int_div_zero 0
	.end_amdhsa_kernel
	.section	.text._ZN2at6native12_GLOBAL__N_125multi_tensor_apply_kernelINS1_18TensorListMetadataILi2EEENS1_19FusedSgdMathFunctorIN3c108BFloat16ELi2EEEJddPfddbbbS9_S9_EEEvT_T0_DpT1_,"axG",@progbits,_ZN2at6native12_GLOBAL__N_125multi_tensor_apply_kernelINS1_18TensorListMetadataILi2EEENS1_19FusedSgdMathFunctorIN3c108BFloat16ELi2EEEJddPfddbbbS9_S9_EEEvT_T0_DpT1_,comdat
.Lfunc_end7:
	.size	_ZN2at6native12_GLOBAL__N_125multi_tensor_apply_kernelINS1_18TensorListMetadataILi2EEENS1_19FusedSgdMathFunctorIN3c108BFloat16ELi2EEEJddPfddbbbS9_S9_EEEvT_T0_DpT1_, .Lfunc_end7-_ZN2at6native12_GLOBAL__N_125multi_tensor_apply_kernelINS1_18TensorListMetadataILi2EEENS1_19FusedSgdMathFunctorIN3c108BFloat16ELi2EEEJddPfddbbbS9_S9_EEEvT_T0_DpT1_
                                        ; -- End function
	.set _ZN2at6native12_GLOBAL__N_125multi_tensor_apply_kernelINS1_18TensorListMetadataILi2EEENS1_19FusedSgdMathFunctorIN3c108BFloat16ELi2EEEJddPfddbbbS9_S9_EEEvT_T0_DpT1_.num_vgpr, 31
	.set _ZN2at6native12_GLOBAL__N_125multi_tensor_apply_kernelINS1_18TensorListMetadataILi2EEENS1_19FusedSgdMathFunctorIN3c108BFloat16ELi2EEEJddPfddbbbS9_S9_EEEvT_T0_DpT1_.num_agpr, 0
	.set _ZN2at6native12_GLOBAL__N_125multi_tensor_apply_kernelINS1_18TensorListMetadataILi2EEENS1_19FusedSgdMathFunctorIN3c108BFloat16ELi2EEEJddPfddbbbS9_S9_EEEvT_T0_DpT1_.numbered_sgpr, 27
	.set _ZN2at6native12_GLOBAL__N_125multi_tensor_apply_kernelINS1_18TensorListMetadataILi2EEENS1_19FusedSgdMathFunctorIN3c108BFloat16ELi2EEEJddPfddbbbS9_S9_EEEvT_T0_DpT1_.num_named_barrier, 0
	.set _ZN2at6native12_GLOBAL__N_125multi_tensor_apply_kernelINS1_18TensorListMetadataILi2EEENS1_19FusedSgdMathFunctorIN3c108BFloat16ELi2EEEJddPfddbbbS9_S9_EEEvT_T0_DpT1_.private_seg_size, 0
	.set _ZN2at6native12_GLOBAL__N_125multi_tensor_apply_kernelINS1_18TensorListMetadataILi2EEENS1_19FusedSgdMathFunctorIN3c108BFloat16ELi2EEEJddPfddbbbS9_S9_EEEvT_T0_DpT1_.uses_vcc, 1
	.set _ZN2at6native12_GLOBAL__N_125multi_tensor_apply_kernelINS1_18TensorListMetadataILi2EEENS1_19FusedSgdMathFunctorIN3c108BFloat16ELi2EEEJddPfddbbbS9_S9_EEEvT_T0_DpT1_.uses_flat_scratch, 0
	.set _ZN2at6native12_GLOBAL__N_125multi_tensor_apply_kernelINS1_18TensorListMetadataILi2EEENS1_19FusedSgdMathFunctorIN3c108BFloat16ELi2EEEJddPfddbbbS9_S9_EEEvT_T0_DpT1_.has_dyn_sized_stack, 0
	.set _ZN2at6native12_GLOBAL__N_125multi_tensor_apply_kernelINS1_18TensorListMetadataILi2EEENS1_19FusedSgdMathFunctorIN3c108BFloat16ELi2EEEJddPfddbbbS9_S9_EEEvT_T0_DpT1_.has_recursion, 0
	.set _ZN2at6native12_GLOBAL__N_125multi_tensor_apply_kernelINS1_18TensorListMetadataILi2EEENS1_19FusedSgdMathFunctorIN3c108BFloat16ELi2EEEJddPfddbbbS9_S9_EEEvT_T0_DpT1_.has_indirect_call, 0
	.section	.AMDGPU.csdata,"",@progbits
; Kernel info:
; codeLenInByte = 3632
; TotalNumSgprs: 29
; NumVgprs: 31
; ScratchSize: 0
; MemoryBound: 0
; FloatMode: 240
; IeeeMode: 1
; LDSByteSize: 0 bytes/workgroup (compile time only)
; SGPRBlocks: 0
; VGPRBlocks: 1
; NumSGPRsForWavesPerEU: 29
; NumVGPRsForWavesPerEU: 31
; NamedBarCnt: 0
; Occupancy: 16
; WaveLimiterHint : 0
; COMPUTE_PGM_RSRC2:SCRATCH_EN: 0
; COMPUTE_PGM_RSRC2:USER_SGPR: 2
; COMPUTE_PGM_RSRC2:TRAP_HANDLER: 0
; COMPUTE_PGM_RSRC2:TGID_X_EN: 1
; COMPUTE_PGM_RSRC2:TGID_Y_EN: 0
; COMPUTE_PGM_RSRC2:TGID_Z_EN: 0
; COMPUTE_PGM_RSRC2:TIDIG_COMP_CNT: 0
	.section	.AMDGPU.gpr_maximums,"",@progbits
	.set amdgpu.max_num_vgpr, 0
	.set amdgpu.max_num_agpr, 0
	.set amdgpu.max_num_sgpr, 0
	.section	.AMDGPU.csdata,"",@progbits
	.type	__hip_cuid_a6acea1b9e395aa4,@object ; @__hip_cuid_a6acea1b9e395aa4
	.section	.bss,"aw",@nobits
	.globl	__hip_cuid_a6acea1b9e395aa4
__hip_cuid_a6acea1b9e395aa4:
	.byte	0                               ; 0x0
	.size	__hip_cuid_a6acea1b9e395aa4, 1

	.ident	"AMD clang version 22.0.0git (https://github.com/RadeonOpenCompute/llvm-project roc-7.2.4 26084 f58b06dce1f9c15707c5f808fd002e18c2accf7e)"
	.section	".note.GNU-stack","",@progbits
	.addrsig
	.addrsig_sym __hip_cuid_a6acea1b9e395aa4
	.amdgpu_metadata
---
amdhsa.kernels:
  - .args:
      - .offset:         0
        .size:           3144
        .value_kind:     by_value
      - .offset:         3144
        .size:           1
        .value_kind:     by_value
      - .offset:         3152
        .size:           8
        .value_kind:     by_value
      - .offset:         3160
        .size:           8
        .value_kind:     by_value
      - .address_space:  global
        .offset:         3168
        .size:           8
        .value_kind:     global_buffer
      - .offset:         3176
        .size:           8
        .value_kind:     by_value
      - .offset:         3184
        .size:           8
        .value_kind:     by_value
      - .offset:         3192
        .size:           1
        .value_kind:     by_value
      - .offset:         3193
        .size:           1
        .value_kind:     by_value
      - .offset:         3194
        .size:           1
        .value_kind:     by_value
      - .address_space:  global
        .offset:         3200
        .size:           8
        .value_kind:     global_buffer
      - .address_space:  global
        .offset:         3208
        .size:           8
        .value_kind:     global_buffer
      - .offset:         3216
        .size:           4
        .value_kind:     hidden_block_count_x
      - .offset:         3220
        .size:           4
        .value_kind:     hidden_block_count_y
      - .offset:         3224
        .size:           4
        .value_kind:     hidden_block_count_z
      - .offset:         3228
        .size:           2
        .value_kind:     hidden_group_size_x
      - .offset:         3230
        .size:           2
        .value_kind:     hidden_group_size_y
      - .offset:         3232
        .size:           2
        .value_kind:     hidden_group_size_z
      - .offset:         3234
        .size:           2
        .value_kind:     hidden_remainder_x
      - .offset:         3236
        .size:           2
        .value_kind:     hidden_remainder_y
      - .offset:         3238
        .size:           2
        .value_kind:     hidden_remainder_z
      - .offset:         3256
        .size:           8
        .value_kind:     hidden_global_offset_x
      - .offset:         3264
        .size:           8
        .value_kind:     hidden_global_offset_y
      - .offset:         3272
        .size:           8
        .value_kind:     hidden_global_offset_z
      - .offset:         3280
        .size:           2
        .value_kind:     hidden_grid_dims
    .group_segment_fixed_size: 0
    .kernarg_segment_align: 8
    .kernarg_segment_size: 3472
    .language:       OpenCL C
    .language_version:
      - 2
      - 0
    .max_flat_workgroup_size: 512
    .name:           _ZN2at6native12_GLOBAL__N_125multi_tensor_apply_kernelINS1_18TensorListMetadataILi3EEENS1_19FusedSgdMathFunctorIdLi3EEEJddPfddbbbS7_S7_EEEvT_T0_DpT1_
    .private_segment_fixed_size: 0
    .sgpr_count:     42
    .sgpr_spill_count: 0
    .symbol:         _ZN2at6native12_GLOBAL__N_125multi_tensor_apply_kernelINS1_18TensorListMetadataILi3EEENS1_19FusedSgdMathFunctorIdLi3EEEJddPfddbbbS7_S7_EEEvT_T0_DpT1_.kd
    .uniform_work_group_size: 1
    .uses_dynamic_stack: false
    .vgpr_count:     72
    .vgpr_spill_count: 0
    .wavefront_size: 32
  - .args:
      - .offset:         0
        .size:           3144
        .value_kind:     by_value
      - .offset:         3144
        .size:           1
        .value_kind:     by_value
      - .offset:         3152
        .size:           8
        .value_kind:     by_value
      - .offset:         3160
        .size:           8
        .value_kind:     by_value
      - .address_space:  global
        .offset:         3168
        .size:           8
        .value_kind:     global_buffer
      - .offset:         3176
        .size:           8
        .value_kind:     by_value
      - .offset:         3184
        .size:           8
        .value_kind:     by_value
      - .offset:         3192
        .size:           1
        .value_kind:     by_value
      - .offset:         3193
        .size:           1
        .value_kind:     by_value
      - .offset:         3194
        .size:           1
        .value_kind:     by_value
      - .address_space:  global
        .offset:         3200
        .size:           8
        .value_kind:     global_buffer
      - .address_space:  global
        .offset:         3208
        .size:           8
        .value_kind:     global_buffer
      - .offset:         3216
        .size:           4
        .value_kind:     hidden_block_count_x
      - .offset:         3220
        .size:           4
        .value_kind:     hidden_block_count_y
      - .offset:         3224
        .size:           4
        .value_kind:     hidden_block_count_z
      - .offset:         3228
        .size:           2
        .value_kind:     hidden_group_size_x
      - .offset:         3230
        .size:           2
        .value_kind:     hidden_group_size_y
      - .offset:         3232
        .size:           2
        .value_kind:     hidden_group_size_z
      - .offset:         3234
        .size:           2
        .value_kind:     hidden_remainder_x
      - .offset:         3236
        .size:           2
        .value_kind:     hidden_remainder_y
      - .offset:         3238
        .size:           2
        .value_kind:     hidden_remainder_z
      - .offset:         3256
        .size:           8
        .value_kind:     hidden_global_offset_x
      - .offset:         3264
        .size:           8
        .value_kind:     hidden_global_offset_y
      - .offset:         3272
        .size:           8
        .value_kind:     hidden_global_offset_z
      - .offset:         3280
        .size:           2
        .value_kind:     hidden_grid_dims
    .group_segment_fixed_size: 0
    .kernarg_segment_align: 8
    .kernarg_segment_size: 3472
    .language:       OpenCL C
    .language_version:
      - 2
      - 0
    .max_flat_workgroup_size: 512
    .name:           _ZN2at6native12_GLOBAL__N_125multi_tensor_apply_kernelINS1_18TensorListMetadataILi3EEENS1_19FusedSgdMathFunctorIfLi3EEEJddPfddbbbS7_S7_EEEvT_T0_DpT1_
    .private_segment_fixed_size: 0
    .sgpr_count:     40
    .sgpr_spill_count: 0
    .symbol:         _ZN2at6native12_GLOBAL__N_125multi_tensor_apply_kernelINS1_18TensorListMetadataILi3EEENS1_19FusedSgdMathFunctorIfLi3EEEJddPfddbbbS7_S7_EEEvT_T0_DpT1_.kd
    .uniform_work_group_size: 1
    .uses_dynamic_stack: false
    .vgpr_count:     57
    .vgpr_spill_count: 0
    .wavefront_size: 32
  - .args:
      - .offset:         0
        .size:           3144
        .value_kind:     by_value
      - .offset:         3144
        .size:           1
        .value_kind:     by_value
      - .offset:         3152
        .size:           8
        .value_kind:     by_value
      - .offset:         3160
        .size:           8
        .value_kind:     by_value
      - .address_space:  global
        .offset:         3168
        .size:           8
        .value_kind:     global_buffer
      - .offset:         3176
        .size:           8
        .value_kind:     by_value
      - .offset:         3184
        .size:           8
        .value_kind:     by_value
      - .offset:         3192
        .size:           1
        .value_kind:     by_value
      - .offset:         3193
        .size:           1
        .value_kind:     by_value
      - .offset:         3194
        .size:           1
        .value_kind:     by_value
      - .address_space:  global
        .offset:         3200
        .size:           8
        .value_kind:     global_buffer
      - .address_space:  global
        .offset:         3208
        .size:           8
        .value_kind:     global_buffer
      - .offset:         3216
        .size:           4
        .value_kind:     hidden_block_count_x
      - .offset:         3220
        .size:           4
        .value_kind:     hidden_block_count_y
      - .offset:         3224
        .size:           4
        .value_kind:     hidden_block_count_z
      - .offset:         3228
        .size:           2
        .value_kind:     hidden_group_size_x
      - .offset:         3230
        .size:           2
        .value_kind:     hidden_group_size_y
      - .offset:         3232
        .size:           2
        .value_kind:     hidden_group_size_z
      - .offset:         3234
        .size:           2
        .value_kind:     hidden_remainder_x
      - .offset:         3236
        .size:           2
        .value_kind:     hidden_remainder_y
      - .offset:         3238
        .size:           2
        .value_kind:     hidden_remainder_z
      - .offset:         3256
        .size:           8
        .value_kind:     hidden_global_offset_x
      - .offset:         3264
        .size:           8
        .value_kind:     hidden_global_offset_y
      - .offset:         3272
        .size:           8
        .value_kind:     hidden_global_offset_z
      - .offset:         3280
        .size:           2
        .value_kind:     hidden_grid_dims
    .group_segment_fixed_size: 0
    .kernarg_segment_align: 8
    .kernarg_segment_size: 3472
    .language:       OpenCL C
    .language_version:
      - 2
      - 0
    .max_flat_workgroup_size: 512
    .name:           _ZN2at6native12_GLOBAL__N_125multi_tensor_apply_kernelINS1_18TensorListMetadataILi3EEENS1_19FusedSgdMathFunctorIN3c104HalfELi3EEEJddPfddbbbS9_S9_EEEvT_T0_DpT1_
    .private_segment_fixed_size: 0
    .sgpr_count:     34
    .sgpr_spill_count: 0
    .symbol:         _ZN2at6native12_GLOBAL__N_125multi_tensor_apply_kernelINS1_18TensorListMetadataILi3EEENS1_19FusedSgdMathFunctorIN3c104HalfELi3EEEJddPfddbbbS9_S9_EEEvT_T0_DpT1_.kd
    .uniform_work_group_size: 1
    .uses_dynamic_stack: false
    .vgpr_count:     59
    .vgpr_spill_count: 0
    .wavefront_size: 32
  - .args:
      - .offset:         0
        .size:           3144
        .value_kind:     by_value
      - .offset:         3144
        .size:           1
        .value_kind:     by_value
      - .offset:         3152
        .size:           8
        .value_kind:     by_value
      - .offset:         3160
        .size:           8
        .value_kind:     by_value
      - .address_space:  global
        .offset:         3168
        .size:           8
        .value_kind:     global_buffer
      - .offset:         3176
        .size:           8
        .value_kind:     by_value
      - .offset:         3184
        .size:           8
        .value_kind:     by_value
      - .offset:         3192
        .size:           1
        .value_kind:     by_value
      - .offset:         3193
        .size:           1
        .value_kind:     by_value
      - .offset:         3194
        .size:           1
        .value_kind:     by_value
      - .address_space:  global
        .offset:         3200
        .size:           8
        .value_kind:     global_buffer
      - .address_space:  global
        .offset:         3208
        .size:           8
        .value_kind:     global_buffer
      - .offset:         3216
        .size:           4
        .value_kind:     hidden_block_count_x
      - .offset:         3220
        .size:           4
        .value_kind:     hidden_block_count_y
      - .offset:         3224
        .size:           4
        .value_kind:     hidden_block_count_z
      - .offset:         3228
        .size:           2
        .value_kind:     hidden_group_size_x
      - .offset:         3230
        .size:           2
        .value_kind:     hidden_group_size_y
      - .offset:         3232
        .size:           2
        .value_kind:     hidden_group_size_z
      - .offset:         3234
        .size:           2
        .value_kind:     hidden_remainder_x
      - .offset:         3236
        .size:           2
        .value_kind:     hidden_remainder_y
      - .offset:         3238
        .size:           2
        .value_kind:     hidden_remainder_z
      - .offset:         3256
        .size:           8
        .value_kind:     hidden_global_offset_x
      - .offset:         3264
        .size:           8
        .value_kind:     hidden_global_offset_y
      - .offset:         3272
        .size:           8
        .value_kind:     hidden_global_offset_z
      - .offset:         3280
        .size:           2
        .value_kind:     hidden_grid_dims
    .group_segment_fixed_size: 0
    .kernarg_segment_align: 8
    .kernarg_segment_size: 3472
    .language:       OpenCL C
    .language_version:
      - 2
      - 0
    .max_flat_workgroup_size: 512
    .name:           _ZN2at6native12_GLOBAL__N_125multi_tensor_apply_kernelINS1_18TensorListMetadataILi3EEENS1_19FusedSgdMathFunctorIN3c108BFloat16ELi3EEEJddPfddbbbS9_S9_EEEvT_T0_DpT1_
    .private_segment_fixed_size: 0
    .sgpr_count:     34
    .sgpr_spill_count: 0
    .symbol:         _ZN2at6native12_GLOBAL__N_125multi_tensor_apply_kernelINS1_18TensorListMetadataILi3EEENS1_19FusedSgdMathFunctorIN3c108BFloat16ELi3EEEJddPfddbbbS9_S9_EEEvT_T0_DpT1_.kd
    .uniform_work_group_size: 1
    .uses_dynamic_stack: false
    .vgpr_count:     56
    .vgpr_spill_count: 0
    .wavefront_size: 32
  - .args:
      - .offset:         0
        .size:           3144
        .value_kind:     by_value
      - .offset:         3144
        .size:           1
        .value_kind:     by_value
      - .offset:         3152
        .size:           8
        .value_kind:     by_value
      - .offset:         3160
        .size:           8
        .value_kind:     by_value
      - .address_space:  global
        .offset:         3168
        .size:           8
        .value_kind:     global_buffer
      - .offset:         3176
        .size:           8
        .value_kind:     by_value
      - .offset:         3184
        .size:           8
        .value_kind:     by_value
      - .offset:         3192
        .size:           1
        .value_kind:     by_value
      - .offset:         3193
        .size:           1
        .value_kind:     by_value
      - .offset:         3194
        .size:           1
        .value_kind:     by_value
      - .address_space:  global
        .offset:         3200
        .size:           8
        .value_kind:     global_buffer
      - .address_space:  global
        .offset:         3208
        .size:           8
        .value_kind:     global_buffer
      - .offset:         3216
        .size:           4
        .value_kind:     hidden_block_count_x
      - .offset:         3220
        .size:           4
        .value_kind:     hidden_block_count_y
      - .offset:         3224
        .size:           4
        .value_kind:     hidden_block_count_z
      - .offset:         3228
        .size:           2
        .value_kind:     hidden_group_size_x
      - .offset:         3230
        .size:           2
        .value_kind:     hidden_group_size_y
      - .offset:         3232
        .size:           2
        .value_kind:     hidden_group_size_z
      - .offset:         3234
        .size:           2
        .value_kind:     hidden_remainder_x
      - .offset:         3236
        .size:           2
        .value_kind:     hidden_remainder_y
      - .offset:         3238
        .size:           2
        .value_kind:     hidden_remainder_z
      - .offset:         3256
        .size:           8
        .value_kind:     hidden_global_offset_x
      - .offset:         3264
        .size:           8
        .value_kind:     hidden_global_offset_y
      - .offset:         3272
        .size:           8
        .value_kind:     hidden_global_offset_z
      - .offset:         3280
        .size:           2
        .value_kind:     hidden_grid_dims
    .group_segment_fixed_size: 0
    .kernarg_segment_align: 8
    .kernarg_segment_size: 3472
    .language:       OpenCL C
    .language_version:
      - 2
      - 0
    .max_flat_workgroup_size: 512
    .name:           _ZN2at6native12_GLOBAL__N_125multi_tensor_apply_kernelINS1_18TensorListMetadataILi2EEENS1_19FusedSgdMathFunctorIdLi2EEEJddPfddbbbS7_S7_EEEvT_T0_DpT1_
    .private_segment_fixed_size: 0
    .sgpr_count:     32
    .sgpr_spill_count: 0
    .symbol:         _ZN2at6native12_GLOBAL__N_125multi_tensor_apply_kernelINS1_18TensorListMetadataILi2EEENS1_19FusedSgdMathFunctorIdLi2EEEJddPfddbbbS7_S7_EEEvT_T0_DpT1_.kd
    .uniform_work_group_size: 1
    .uses_dynamic_stack: false
    .vgpr_count:     54
    .vgpr_spill_count: 0
    .wavefront_size: 32
  - .args:
      - .offset:         0
        .size:           3144
        .value_kind:     by_value
      - .offset:         3144
        .size:           1
        .value_kind:     by_value
      - .offset:         3152
        .size:           8
        .value_kind:     by_value
      - .offset:         3160
        .size:           8
        .value_kind:     by_value
      - .address_space:  global
        .offset:         3168
        .size:           8
        .value_kind:     global_buffer
      - .offset:         3176
        .size:           8
        .value_kind:     by_value
      - .offset:         3184
        .size:           8
        .value_kind:     by_value
      - .offset:         3192
        .size:           1
        .value_kind:     by_value
      - .offset:         3193
        .size:           1
        .value_kind:     by_value
      - .offset:         3194
        .size:           1
        .value_kind:     by_value
      - .address_space:  global
        .offset:         3200
        .size:           8
        .value_kind:     global_buffer
      - .address_space:  global
        .offset:         3208
        .size:           8
        .value_kind:     global_buffer
      - .offset:         3216
        .size:           4
        .value_kind:     hidden_block_count_x
      - .offset:         3220
        .size:           4
        .value_kind:     hidden_block_count_y
      - .offset:         3224
        .size:           4
        .value_kind:     hidden_block_count_z
      - .offset:         3228
        .size:           2
        .value_kind:     hidden_group_size_x
      - .offset:         3230
        .size:           2
        .value_kind:     hidden_group_size_y
      - .offset:         3232
        .size:           2
        .value_kind:     hidden_group_size_z
      - .offset:         3234
        .size:           2
        .value_kind:     hidden_remainder_x
      - .offset:         3236
        .size:           2
        .value_kind:     hidden_remainder_y
      - .offset:         3238
        .size:           2
        .value_kind:     hidden_remainder_z
      - .offset:         3256
        .size:           8
        .value_kind:     hidden_global_offset_x
      - .offset:         3264
        .size:           8
        .value_kind:     hidden_global_offset_y
      - .offset:         3272
        .size:           8
        .value_kind:     hidden_global_offset_z
      - .offset:         3280
        .size:           2
        .value_kind:     hidden_grid_dims
    .group_segment_fixed_size: 0
    .kernarg_segment_align: 8
    .kernarg_segment_size: 3472
    .language:       OpenCL C
    .language_version:
      - 2
      - 0
    .max_flat_workgroup_size: 512
    .name:           _ZN2at6native12_GLOBAL__N_125multi_tensor_apply_kernelINS1_18TensorListMetadataILi2EEENS1_19FusedSgdMathFunctorIfLi2EEEJddPfddbbbS7_S7_EEEvT_T0_DpT1_
    .private_segment_fixed_size: 0
    .sgpr_count:     32
    .sgpr_spill_count: 0
    .symbol:         _ZN2at6native12_GLOBAL__N_125multi_tensor_apply_kernelINS1_18TensorListMetadataILi2EEENS1_19FusedSgdMathFunctorIfLi2EEEJddPfddbbbS7_S7_EEEvT_T0_DpT1_.kd
    .uniform_work_group_size: 1
    .uses_dynamic_stack: false
    .vgpr_count:     42
    .vgpr_spill_count: 0
    .wavefront_size: 32
  - .args:
      - .offset:         0
        .size:           3144
        .value_kind:     by_value
      - .offset:         3144
        .size:           1
        .value_kind:     by_value
      - .offset:         3152
        .size:           8
        .value_kind:     by_value
      - .offset:         3160
        .size:           8
        .value_kind:     by_value
      - .address_space:  global
        .offset:         3168
        .size:           8
        .value_kind:     global_buffer
      - .offset:         3176
        .size:           8
        .value_kind:     by_value
      - .offset:         3184
        .size:           8
        .value_kind:     by_value
      - .offset:         3192
        .size:           1
        .value_kind:     by_value
      - .offset:         3193
        .size:           1
        .value_kind:     by_value
      - .offset:         3194
        .size:           1
        .value_kind:     by_value
      - .address_space:  global
        .offset:         3200
        .size:           8
        .value_kind:     global_buffer
      - .address_space:  global
        .offset:         3208
        .size:           8
        .value_kind:     global_buffer
      - .offset:         3216
        .size:           4
        .value_kind:     hidden_block_count_x
      - .offset:         3220
        .size:           4
        .value_kind:     hidden_block_count_y
      - .offset:         3224
        .size:           4
        .value_kind:     hidden_block_count_z
      - .offset:         3228
        .size:           2
        .value_kind:     hidden_group_size_x
      - .offset:         3230
        .size:           2
        .value_kind:     hidden_group_size_y
      - .offset:         3232
        .size:           2
        .value_kind:     hidden_group_size_z
      - .offset:         3234
        .size:           2
        .value_kind:     hidden_remainder_x
      - .offset:         3236
        .size:           2
        .value_kind:     hidden_remainder_y
      - .offset:         3238
        .size:           2
        .value_kind:     hidden_remainder_z
      - .offset:         3256
        .size:           8
        .value_kind:     hidden_global_offset_x
      - .offset:         3264
        .size:           8
        .value_kind:     hidden_global_offset_y
      - .offset:         3272
        .size:           8
        .value_kind:     hidden_global_offset_z
      - .offset:         3280
        .size:           2
        .value_kind:     hidden_grid_dims
    .group_segment_fixed_size: 0
    .kernarg_segment_align: 8
    .kernarg_segment_size: 3472
    .language:       OpenCL C
    .language_version:
      - 2
      - 0
    .max_flat_workgroup_size: 512
    .name:           _ZN2at6native12_GLOBAL__N_125multi_tensor_apply_kernelINS1_18TensorListMetadataILi2EEENS1_19FusedSgdMathFunctorIN3c104HalfELi2EEEJddPfddbbbS9_S9_EEEvT_T0_DpT1_
    .private_segment_fixed_size: 0
    .sgpr_count:     30
    .sgpr_spill_count: 0
    .symbol:         _ZN2at6native12_GLOBAL__N_125multi_tensor_apply_kernelINS1_18TensorListMetadataILi2EEENS1_19FusedSgdMathFunctorIN3c104HalfELi2EEEJddPfddbbbS9_S9_EEEvT_T0_DpT1_.kd
    .uniform_work_group_size: 1
    .uses_dynamic_stack: false
    .vgpr_count:     44
    .vgpr_spill_count: 0
    .wavefront_size: 32
  - .args:
      - .offset:         0
        .size:           3144
        .value_kind:     by_value
      - .offset:         3144
        .size:           1
        .value_kind:     by_value
      - .offset:         3152
        .size:           8
        .value_kind:     by_value
      - .offset:         3160
        .size:           8
        .value_kind:     by_value
      - .address_space:  global
        .offset:         3168
        .size:           8
        .value_kind:     global_buffer
      - .offset:         3176
        .size:           8
        .value_kind:     by_value
      - .offset:         3184
        .size:           8
        .value_kind:     by_value
      - .offset:         3192
        .size:           1
        .value_kind:     by_value
      - .offset:         3193
        .size:           1
        .value_kind:     by_value
      - .offset:         3194
        .size:           1
        .value_kind:     by_value
      - .address_space:  global
        .offset:         3200
        .size:           8
        .value_kind:     global_buffer
      - .address_space:  global
        .offset:         3208
        .size:           8
        .value_kind:     global_buffer
      - .offset:         3216
        .size:           4
        .value_kind:     hidden_block_count_x
      - .offset:         3220
        .size:           4
        .value_kind:     hidden_block_count_y
      - .offset:         3224
        .size:           4
        .value_kind:     hidden_block_count_z
      - .offset:         3228
        .size:           2
        .value_kind:     hidden_group_size_x
      - .offset:         3230
        .size:           2
        .value_kind:     hidden_group_size_y
      - .offset:         3232
        .size:           2
        .value_kind:     hidden_group_size_z
      - .offset:         3234
        .size:           2
        .value_kind:     hidden_remainder_x
      - .offset:         3236
        .size:           2
        .value_kind:     hidden_remainder_y
      - .offset:         3238
        .size:           2
        .value_kind:     hidden_remainder_z
      - .offset:         3256
        .size:           8
        .value_kind:     hidden_global_offset_x
      - .offset:         3264
        .size:           8
        .value_kind:     hidden_global_offset_y
      - .offset:         3272
        .size:           8
        .value_kind:     hidden_global_offset_z
      - .offset:         3280
        .size:           2
        .value_kind:     hidden_grid_dims
    .group_segment_fixed_size: 0
    .kernarg_segment_align: 8
    .kernarg_segment_size: 3472
    .language:       OpenCL C
    .language_version:
      - 2
      - 0
    .max_flat_workgroup_size: 512
    .name:           _ZN2at6native12_GLOBAL__N_125multi_tensor_apply_kernelINS1_18TensorListMetadataILi2EEENS1_19FusedSgdMathFunctorIN3c108BFloat16ELi2EEEJddPfddbbbS9_S9_EEEvT_T0_DpT1_
    .private_segment_fixed_size: 0
    .sgpr_count:     29
    .sgpr_spill_count: 0
    .symbol:         _ZN2at6native12_GLOBAL__N_125multi_tensor_apply_kernelINS1_18TensorListMetadataILi2EEENS1_19FusedSgdMathFunctorIN3c108BFloat16ELi2EEEJddPfddbbbS9_S9_EEEvT_T0_DpT1_.kd
    .uniform_work_group_size: 1
    .uses_dynamic_stack: false
    .vgpr_count:     31
    .vgpr_spill_count: 0
    .wavefront_size: 32
amdhsa.target:   amdgcn-amd-amdhsa--gfx1250
amdhsa.version:
  - 1
  - 2
...

	.end_amdgpu_metadata
